;; amdgpu-corpus repo=ROCm/aiter kind=harvested arch=n/a opt=n/a

/root/src/amdgpu-assembly/repos/ROCm__aiter/hsa/gfx950/bf16gemm/bf16gemm_fp32bf16_tn_48x64_splitk_clean.co:	file format elf64-amdgpu

Disassembly of section .text:

0000000000002a00 <_ZN5aiter39bf16gemm_fp32bf16_tn_48x64_splitk_cleanE>:
	s_mov_b32 s53, s4                                          // 000000002A00: BEB50004
	s_and_b32 s1, s1, 0xffff                                   // 000000002A04: 8601FF01 0000FFFF
	s_load_dword s25, s[0:1], 0xe0                             // 000000002A0C: C0020640 000000E0
	s_load_dword s26, s[0:1], 0xf0                             // 000000002A14: C0020680 000000F0
	s_load_dword s27, s[0:1], 0x100                            // 000000002A1C: C00206C0 00000100
	s_load_dword s28, s[0:1], 0xa0                             // 000000002A24: C0020700 000000A0
	s_load_dword s29, s[0:1], 0xc0                             // 000000002A2C: C0020740 000000C0
	s_load_dword s30, s[0:1], 0x80                             // 000000002A34: C0020780 00000080
	s_load_dword s20, s[0:1], 0x40                             // 000000002A3C: C0020500 00000040
	s_load_dword s21, s[0:1], 0x50                             // 000000002A44: C0020540 00000050
	s_load_dwordx2 s[4:5], s[0:1], 0x20                        // 000000002A4C: C0060100 00000020
	s_load_dwordx2 s[8:9], s[0:1], 0x30                        // 000000002A54: C0060200 00000030
	s_load_dwordx2 s[12:13], s[0:1], 0x10                      // 000000002A5C: C0060300 00000010
	s_load_dwordx2 s[16:17], s[0:1], 0x0                       // 000000002A64: C0060400 00000000
	s_load_dword s52, s[0:1], 0x110                            // 000000002A6C: C0020D00 00000110
	s_load_dword s54, s[0:1], 0x120                            // 000000002A74: C0020D80 00000120
	s_load_dwordx2 s[36:37], s[0:1], 0x130                     // 000000002A7C: C0060900 00000130
	s_load_dword s61, s[0:1], 0x140                            // 000000002A84: C0020F40 00000140
	s_load_dwordx2 s[40:41], s[0:1], 0x150                     // 000000002A8C: C0060A00 00000150
	v_lshrrev_b32_e32 v1, 10, v0                               // 000000002A94: 2002008A
	v_lshrrev_b32_e32 v2, 10, v1                               // 000000002A98: 2004028A
	v_and_b32_e32 v2, 0x3ff, v2                                // 000000002A9C: 260404FF 000003FF
	v_and_b32_e32 v1, 0x3ff, v1                                // 000000002AA4: 260202FF 000003FF
	v_and_b32_e32 v0, 0x3ff, v0                                // 000000002AAC: 260000FF 000003FF
	v_lshrrev_b32_e32 v3, 6, v0                                // 000000002AB4: 20060086
	v_and_b32_e32 v0, 63, v0                                   // 000000002AB8: 260000BF
	s_mov_b32 s22, s2                                          // 000000002ABC: BE960002
	s_mov_b32 s23, s3                                          // 000000002AC0: BE970003
	v_readfirstlane_b32 s24, v3                                // 000000002AC4: 7E300503
	s_waitcnt lgkmcnt(0)                                       // 000000002AC8: BF8CC07F
	s_mov_b32 s18, -16                                         // 000000002ACC: BE9200D0
	s_mov_b32 s14, -16                                         // 000000002AD0: BE8E00D0
	s_mov_b32 s10, -16                                         // 000000002AD4: BE8A00D0
	s_mov_b32 s6, -16                                          // 000000002AD8: BE8600D0
	s_mov_b32 s38, -16                                         // 000000002ADC: BEA600D0
	s_mov_b32 s19, 0x20000                                     // 000000002AE0: BE9300FF 00020000
	s_mov_b32 s15, 0x20000                                     // 000000002AE8: BE8F00FF 00020000
	s_mov_b32 s11, 0x20000                                     // 000000002AF0: BE8B00FF 00020000
	s_mov_b32 s7, 0x20000                                      // 000000002AF8: BE8700FF 00020000
	s_mov_b32 s39, 0x20000                                     // 000000002B00: BEA700FF 00020000
	s_and_b32 s17, s17, 0xffff                                 // 000000002B08: 8611FF11 0000FFFF
	s_and_b32 s13, s13, 0xffff                                 // 000000002B10: 860DFF0D 0000FFFF
	s_and_b32 s9, s9, 0xffff                                   // 000000002B18: 8609FF09 0000FFFF
	s_and_b32 s5, s5, 0xffff                                   // 000000002B20: 8605FF05 0000FFFF
	s_and_b32 s37, s37, 0xffff                                 // 000000002B28: 8625FF25 0000FFFF
	s_or_b32 s17, s17, 0x40000                                 // 000000002B30: 8711FF11 00040000
	s_or_b32 s13, s13, 0x40000                                 // 000000002B38: 870DFF0D 00040000
	s_or_b32 s9, s9, 0x40000                                   // 000000002B40: 8709FF09 00040000
	s_or_b32 s5, s5, 0x40000                                   // 000000002B48: 8705FF05 00040000
	s_or_b32 s37, s37, 0x40000                                 // 000000002B50: 8725FF25 00040000
	s_add_u32 s31, s26, 63                                     // 000000002B58: 801FBF1A
	s_lshr_b32 s31, s31, 6                                     // 000000002B5C: 8F1F861F
	s_mul_i32 s62, s23, s31                                    // 000000002B60: 923E1F17
	s_add_u32 s62, s62, s22                                    // 000000002B64: 803E163E
	s_lshl_b32 s62, s62, 2                                     // 000000002B68: 8E3E823E
	s_cmp_eq_u32 s53, 0                                        // 000000002B6C: BF068035
	s_cbranch_scc0 label_005F                                  // 000000002B70: BF840002
	s_load_dword s63, s[40:41], s62 glc                        // 000000002B74: C0010FD4 0000003E

0000000000002b7c <label_005F>:
	s_mov_b32 s35, 0x7060302                                   // 000000002B7C: BEA300FF 07060302
	v_mov_b32_e32 v9, 0xffff0000                               // 000000002B84: 7E1202FF FFFF0000
	v_mov_b32_e32 v10, 0x7fff0000                              // 000000002B8C: 7E1402FF 7FFF0000
	v_mov_b32_e32 v11, 0x7fff                                  // 000000002B94: 7E1602FF 00007FFF
	s_mul_i32 s31, s30, s25                                    // 000000002B9C: 921F191E
	s_mov_b32 s18, s31                                         // 000000002BA0: BE92001F
	s_cmp_lt_u32 s54, 1                                        // 000000002BA4: BF0A8136
	s_cbranch_scc0 label_0086                                  // 000000002BA8: BF84001B
	v_and_b32_e64 v12, v0, 15                                  // 000000002BAC: D113000C 00011F00
	v_mul_lo_u32 v12, v12, s30                                 // 000000002BB4: D285000C 00003D0C
	v_lshrrev_b32_e32 v4, 4, v0                                // 000000002BBC: 20080084
	v_mul_i32_i24_e32 v4, 16, v4                               // 000000002BC0: 0C080890
	v_add_u32_e32 v12, v4, v12                                 // 000000002BC4: 68181904
	s_mul_i32 s31, s23, 48                                     // 000000002BC8: 921FB017
	s_mul_i32 s31, s31, s30                                    // 000000002BCC: 921F1E1F
	v_add_u32_e32 v12, s31, v12                                // 000000002BD0: 6818181F
	s_mul_i32 s31, s22, 64                                     // 000000002BD4: 921FC016
	s_mul_i32 s31, s31, 4                                      // 000000002BD8: 921F841F
	v_add_u32_e32 v12, s31, v12                                // 000000002BDC: 6818181F
	s_mul_i32 s31, 64, s24                                     // 000000002BE0: 921F18C0
	v_add_u32_e32 v12, s31, v12                                // 000000002BE4: 6818181F
	s_mul_i32 s31, 16, s30                                     // 000000002BE8: 921F1E90
	v_add_u32_e32 v13, s31, v12                                // 000000002BEC: 681A181F
	v_add_u32_e32 v14, s31, v13                                // 000000002BF0: 681C1A1F
	s_mul_i32 s31, s23, 48                                     // 000000002BF4: 921FB017
	s_add_i32 s31, s31, s24                                    // 000000002BF8: 811F181F
	s_mul_i32 s31, s31, s30                                    // 000000002BFC: 921F1E1F
	s_mul_i32 s32, s22, 64                                     // 000000002C00: 9220C016
	s_mul_i32 s32, s32, 4                                      // 000000002C04: 92208420
	s_add_i32 s31, s31, s32                                    // 000000002C08: 811F201F
	v_lshlrev_b32_e32 v15, 2, v0                               // 000000002C0C: 241E0082
	v_add_u32_e32 v15, s31, v15                                // 000000002C10: 681E1E1F
	s_branch label_00A6                                        // 000000002C14: BF820020

0000000000002c18 <label_0086>:
	v_and_b32_e64 v12, v0, 15                                  // 000000002C18: D113000C 00011F00
	v_mul_lo_u32 v12, v12, s30                                 // 000000002C20: D285000C 00003D0C
	v_lshrrev_b32_e32 v4, 4, v0                                // 000000002C28: 20080084
	v_mul_i32_i24_e32 v4, 8, v4                                // 000000002C2C: 0C080888
	v_add_u32_e32 v12, v4, v12                                 // 000000002C30: 68181904
	s_mul_i32 s31, s23, 48                                     // 000000002C34: 921FB017
	s_mul_i32 s31, s31, s30                                    // 000000002C38: 921F1E1F
	v_add_u32_e32 v12, s31, v12                                // 000000002C3C: 6818181F
	s_mul_i32 s31, s22, 64                                     // 000000002C40: 921FC016
	s_mul_i32 s31, s31, 2                                      // 000000002C44: 921F821F
	v_add_u32_e32 v12, s31, v12                                // 000000002C48: 6818181F
	s_mul_i32 s31, 32, s24                                     // 000000002C4C: 921F18A0
	v_add_u32_e32 v12, s31, v12                                // 000000002C50: 6818181F
	s_mul_i32 s31, 16, s30                                     // 000000002C54: 921F1E90
	v_add_u32_e32 v13, s31, v12                                // 000000002C58: 681A181F
	v_add_u32_e32 v14, s31, v13                                // 000000002C5C: 681C1A1F
	s_mul_i32 s31, s23, 48                                     // 000000002C60: 921FB017
	s_add_i32 s31, s31, s24                                    // 000000002C64: 811F181F
	s_mul_i32 s31, s31, s30                                    // 000000002C68: 921F1E1F
	s_mul_i32 s32, s22, 64                                     // 000000002C6C: 9220C016
	s_mul_i32 s32, s32, 2                                      // 000000002C70: 92208220
	s_add_i32 s31, s31, s32                                    // 000000002C74: 811F201F
	v_lshrrev_b32_e32 v4, 5, v0                                // 000000002C78: 20080085
	s_mul_i32 s32, s30, 4                                      // 000000002C7C: 9220841E
	v_mul_lo_u32 v4, v4, s32                                   // 000000002C80: D2850004 00004104
	v_and_b32_e32 v5, 31, v0                                   // 000000002C88: 260A009F
	v_lshlrev_b32_e32 v5, 2, v5                                // 000000002C8C: 240A0A82
	v_add_u32_e32 v15, v4, v5                                  // 000000002C90: 681E0B04
	v_add_u32_e32 v15, s31, v15                                // 000000002C94: 681E1E1F

0000000000002c98 <label_00A6>:
	s_cmp_eq_u32 s53, 0                                        // 000000002C98: BF068035
	s_cbranch_scc0 label_00C2                                  // 000000002C9C: BF84001A
	s_mov_b32 s31, 0                                           // 000000002CA0: BE9F0080

0000000000002ca4 <label_00A9>:
	s_waitcnt lgkmcnt(0)                                       // 000000002CA4: BF8CC07F
	s_cmp_eq_u32 s63, s31                                      // 000000002CA8: BF061F3F
	s_cbranch_scc1 label_00AF                                  // 000000002CAC: BF850003
	s_load_dword s63, s[40:41], s62 glc                        // 000000002CB0: C0010FD4 0000003E
	s_branch label_00A9                                        // 000000002CB8: BF82FFFA

0000000000002cbc <label_00AF>:
	v_mov_b32_e32 v44, 0                                       // 000000002CBC: 7E580280
	v_mov_b32_e32 v45, 0                                       // 000000002CC0: 7E5A0280
	v_mov_b32_e32 v46, 0                                       // 000000002CC4: 7E5C0280
	v_mov_b32_e32 v47, 0                                       // 000000002CC8: 7E5E0280
	s_cmp_lt_u32 s54, 1                                        // 000000002CCC: BF0A8136
	s_cbranch_scc0 label_00BC                                  // 000000002CD0: BF840007
	buffer_store_dwordx4 v[44:47], v12, s[16:19], 0 offen sc0 nt sc1// 000000002CD4: E07ED000 80042C0C
	buffer_store_dwordx4 v[44:47], v13, s[16:19], 0 offen sc0 nt sc1// 000000002CDC: E07ED000 80042C0D
	buffer_store_dwordx4 v[44:47], v14, s[16:19], 0 offen sc0 nt sc1// 000000002CE4: E07ED000 80042C0E
	s_branch label_00C2                                        // 000000002CEC: BF820006

0000000000002cf0 <label_00BC>:
	buffer_store_dwordx2 v[44:45], v12, s[16:19], 0 offen sc0 nt sc1// 000000002CF0: E076D000 80042C0C
	buffer_store_dwordx2 v[44:45], v13, s[16:19], 0 offen sc0 nt sc1// 000000002CF8: E076D000 80042C0D
	buffer_store_dwordx2 v[44:45], v14, s[16:19], 0 offen sc0 nt sc1// 000000002D00: E076D000 80042C0E

0000000000002d08 <label_00C2>:
	s_mul_i32 s31, s28, s25                                    // 000000002D08: 921F191C
	s_mov_b32 s6, s31                                          // 000000002D0C: BE86001F
	s_mov_b32 s44, 0x80                                        // 000000002D10: BEAC00FF 00000080
	v_lshrrev_b32_e32 v4, 5, v0                                // 000000002D18: 20080085
	v_lshlrev_b32_e32 v4, 2, v4                                // 000000002D1C: 24080882
	v_mul_lo_u32 v16, v4, s28                                  // 000000002D20: D2850010 00003904
	v_and_b32_e32 v4, 31, v0                                   // 000000002D28: 2608009F
	v_lshlrev_b32_e32 v4, 2, v4                                // 000000002D2C: 24080882
	v_add_u32_e32 v16, v16, v4                                 // 000000002D30: 68200910
	s_mul_i32 s31, 8, s28                                      // 000000002D34: 921F1C88
	v_add_u32_e64 v17, v16, s31                                // 000000002D38: D1340011 00003F10
	v_add_u32_e64 v18, v17, s31                                // 000000002D40: D1340012 00003F11
	v_add_u32_e64 v19, v18, s31                                // 000000002D48: D1340013 00003F12
	v_add_u32_e64 v20, v19, s31                                // 000000002D50: D1340014 00003F13
	v_add_u32_e64 v21, v20, s31                                // 000000002D58: D1340015 00003F14
	s_mul_i32 s31, s23, 48                                     // 000000002D60: 921FB017
	s_add_u32 s31, s31, s24                                    // 000000002D64: 801F181F
	s_mul_i32 s32, s31, s28                                    // 000000002D68: 92201C1F
	v_add_u32_e64 v16, v16, s32                                // 000000002D6C: D1340010 00004110
	v_add_u32_e64 v17, v17, s32                                // 000000002D74: D1340011 00004111
	v_add_u32_e64 v18, v18, s32                                // 000000002D7C: D1340012 00004112
	v_add_u32_e64 v19, v19, s32                                // 000000002D84: D1340013 00004113
	v_add_u32_e64 v20, v20, s32                                // 000000002D8C: D1340014 00004114
	v_add_u32_e64 v21, v21, s32                                // 000000002D94: D1340015 00004115
	v_lshrrev_b32_e32 v4, 4, v0                                // 000000002D9C: 20080084
	v_lshlrev_b32_e32 v5, 2, v4                                // 000000002DA0: 240A0882
	v_and_b32_e32 v4, 15, v0                                   // 000000002DA4: 2608008F
	v_lshrrev_b32_e32 v6, 2, v4                                // 000000002DA8: 200C0882
	v_lshlrev_b32_e32 v6, 5, v6                                // 000000002DAC: 240C0C85
	v_add_u32_e32 v5, v6, v5                                   // 000000002DB0: 680A0B06
	v_and_b32_e32 v4, 3, v0                                    // 000000002DB4: 26080083
	v_mul_u32_u24_e32 v6, 0x188, v4                            // 000000002DB8: 100C08FF 00000188
	v_add_u32_e32 v5, v6, v5                                   // 000000002DC0: 680A0B06
	v_lshlrev_b32_e32 v22, 2, v5                               // 000000002DC4: 242C0A82
	s_mul_i32 s31, s24, 0x620                                  // 000000002DC8: 921FFF18 00000620
	s_add_u32 s46, 0, s31                                      // 000000002DD0: 802E1F80
	s_add_u32 s47, 0x1880, s46                                 // 000000002DD4: 802F2EFF 00001880
	s_add_u32 s48, 0x1880, s47                                 // 000000002DDC: 80302FFF 00001880
	s_mul_i32 s31, s29, s26                                    // 000000002DE4: 921F1A1D
	s_mov_b32 s10, s31                                         // 000000002DE8: BE8A001F
	s_mov_b32 s45, 0x80                                        // 000000002DEC: BEAD00FF 00000080
	v_lshrrev_b32_e32 v4, 5, v0                                // 000000002DF4: 20080085
	v_lshlrev_b32_e32 v4, 2, v4                                // 000000002DF8: 24080882
	v_mul_lo_u32 v23, v4, s29                                  // 000000002DFC: D2850017 00003B04
	v_and_b32_e32 v4, 31, v0                                   // 000000002E04: 2608009F
	v_lshlrev_b32_e32 v4, 2, v4                                // 000000002E08: 24080882
	v_add_u32_e32 v23, v23, v4                                 // 000000002E0C: 682E0917
	s_mul_i32 s31, 8, s29                                      // 000000002E10: 921F1D88
	v_add_u32_e64 v24, v23, s31                                // 000000002E14: D1340018 00003F17
	v_add_u32_e64 v25, v24, s31                                // 000000002E1C: D1340019 00003F18
	v_add_u32_e64 v26, v25, s31                                // 000000002E24: D134001A 00003F19
	v_add_u32_e64 v27, v26, s31                                // 000000002E2C: D134001B 00003F1A
	v_add_u32_e64 v28, v27, s31                                // 000000002E34: D134001C 00003F1B
	v_add_u32_e64 v29, v28, s31                                // 000000002E3C: D134001D 00003F1C
	v_add_u32_e64 v30, v29, s31                                // 000000002E44: D134001E 00003F1D
	s_mul_i32 s31, s22, 64                                     // 000000002E4C: 921FC016
	s_add_u32 s31, s31, s24                                    // 000000002E50: 801F181F
	s_mul_i32 s32, s31, s29                                    // 000000002E54: 92201D1F
	v_add_u32_e64 v23, v23, s32                                // 000000002E58: D1340017 00004117
	v_add_u32_e64 v24, v24, s32                                // 000000002E60: D1340018 00004118
	v_add_u32_e64 v25, v25, s32                                // 000000002E68: D1340019 00004119
	v_add_u32_e64 v26, v26, s32                                // 000000002E70: D134001A 0000411A
	v_add_u32_e64 v27, v27, s32                                // 000000002E78: D134001B 0000411B
	v_add_u32_e64 v28, v28, s32                                // 000000002E80: D134001C 0000411C
	v_add_u32_e64 v29, v29, s32                                // 000000002E88: D134001D 0000411D
	v_add_u32_e64 v30, v30, s32                                // 000000002E90: D134001E 0000411E
	s_cmp_le_u32 s52, 1                                        // 000000002E98: BF0B8134
	s_cbranch_scc1 label_016D                                  // 000000002E9C: BF850045
	s_lshr_b32 s32, s27, 6                                     // 000000002EA0: 8F20861B
	v_cvt_f32_u32_e32 v4, s52                                  // 000000002EA4: 7E080C34
	s_sub_i32 s31, 0, s52                                      // 000000002EA8: 819F3480
	v_rcp_iflag_f32_e32 v4, v4                                 // 000000002EAC: 7E084704
	s_nop 0                                                    // 000000002EB0: BF800000
	v_mul_f32_e32 v4, 0x4f7ffffe, v4                           // 000000002EB4: 0A0808FF 4F7FFFFE
	v_cvt_u32_f32_e32 v4, v4                                   // 000000002EBC: 7E080F04
	v_mul_lo_u32 v5, s31, v4                                   // 000000002EC0: D2850005 0002081F
	v_mul_hi_u32 v5, v4, v5                                    // 000000002EC8: D2860005 00020B04
	v_add_u32_e32 v4, v4, v5                                   // 000000002ED0: 68080B04
	v_mul_hi_u32 v4, s32, v4                                   // 000000002ED4: D2860004 00020820
	v_mul_lo_u32 v5, v4, s52                                   // 000000002EDC: D2850005 00006904
	v_sub_u32_e32 v7, s32, v5                                  // 000000002EE4: 6A0E0A20
	v_add_u32_e32 v6, 1, v4                                    // 000000002EE8: 680C0881
	v_cmp_le_u32_e32 vcc, s52, v7                              // 000000002EEC: 7D960E34
	v_subrev_u32_e32 v5, s52, v7                               // 000000002EF0: 6C0A0E34
	s_nop 0                                                    // 000000002EF4: BF800000
	v_cndmask_b32_e32 v4, v4, v6, vcc                          // 000000002EF8: 00080D04
	v_cndmask_b32_e32 v7, v7, v5, vcc                          // 000000002EFC: 000E0B07
	v_add_u32_e32 v5, 1, v4                                    // 000000002F00: 680A0881
	v_cmp_le_u32_e32 vcc, s52, v7                              // 000000002F04: 7D960E34
	s_nop 1                                                    // 000000002F08: BF800001
	v_cndmask_b32_e32 v7, v4, v5, vcc                          // 000000002F0C: 000E0B04
	s_nop 3                                                    // 000000002F10: BF800003
	v_readfirstlane_b32 s32, v7                                // 000000002F14: 7E400507
	s_nop 3                                                    // 000000002F18: BF800003
	s_mul_i32 s32, s32, 64                                     // 000000002F1C: 9220C020
	s_mul_i32 s31, s53, s32                                    // 000000002F20: 921F2035
	s_sub_i32 s56, s27, s31                                    // 000000002F24: 81B81F1B
	s_sub_i32 s31, s52, 1                                      // 000000002F28: 819F8134
	s_cmp_eq_i32 s53, s31                                      // 000000002F2C: BF001F35
	s_cselect_b32 s27, s56, s32                                // 000000002F30: 851B2038
	s_mul_i32 s31, s32, 2                                      // 000000002F34: 921F8220
	s_mul_i32 s31, s31, s53                                    // 000000002F38: 921F351F
	v_add_u32_e64 v16, v16, s31                                // 000000002F3C: D1340010 00003F10
	v_add_u32_e64 v17, v17, s31                                // 000000002F44: D1340011 00003F11
	v_add_u32_e64 v18, v18, s31                                // 000000002F4C: D1340012 00003F12
	v_add_u32_e64 v19, v19, s31                                // 000000002F54: D1340013 00003F13
	v_add_u32_e64 v20, v20, s31                                // 000000002F5C: D1340014 00003F14
	v_add_u32_e64 v21, v21, s31                                // 000000002F64: D1340015 00003F15
	s_mul_i32 s31, s32, 2                                      // 000000002F6C: 921F8220
	s_mul_i32 s31, s31, s53                                    // 000000002F70: 921F351F
	v_add_u32_e64 v23, v23, s31                                // 000000002F74: D1340017 00003F17
	v_add_u32_e64 v24, v24, s31                                // 000000002F7C: D1340018 00003F18
	v_add_u32_e64 v25, v25, s31                                // 000000002F84: D1340019 00003F19
	v_add_u32_e64 v26, v26, s31                                // 000000002F8C: D134001A 00003F1A
	v_add_u32_e64 v27, v27, s31                                // 000000002F94: D134001B 00003F1B
	v_add_u32_e64 v28, v28, s31                                // 000000002F9C: D134001C 00003F1C
	v_add_u32_e64 v29, v29, s31                                // 000000002FA4: D134001D 00003F1D
	v_add_u32_e64 v30, v30, s31                                // 000000002FAC: D134001E 00003F1E

0000000000002fb4 <label_016D>:
	v_lshrrev_b32_e32 v4, 4, v0                                // 000000002FB4: 20080084
	v_lshlrev_b32_e32 v5, 2, v4                                // 000000002FB8: 240A0882
	v_and_b32_e32 v4, 15, v0                                   // 000000002FBC: 2608008F
	v_lshrrev_b32_e32 v6, 2, v4                                // 000000002FC0: 200C0882
	v_lshlrev_b32_e32 v6, 5, v6                                // 000000002FC4: 240C0C85
	v_add_u32_e32 v5, v6, v5                                   // 000000002FC8: 680A0B06
	v_and_b32_e32 v4, 3, v0                                    // 000000002FCC: 26080083
	v_mul_u32_u24_e32 v6, 0x208, v4                            // 000000002FD0: 100C08FF 00000208
	v_add_u32_e32 v5, v6, v5                                   // 000000002FD8: 680A0B06
	v_lshlrev_b32_e32 v31, 2, v5                               // 000000002FDC: 243E0A82
	s_mul_i32 s31, s24, 0x200                                  // 000000002FE0: 921FFF18 00000200
	v_add_u32_e32 v31, s31, v31                                // 000000002FE8: 683E3E1F
	s_mul_i32 s31, s24, 0x820                                  // 000000002FEC: 921FFF18 00000820
	s_add_u32 s49, 0x4980, s31                                 // 000000002FF4: 80311FFF 00004980
	s_add_u32 s50, 0x2080, s49                                 // 000000002FFC: 803231FF 00002080
	s_add_u32 s51, 0x2080, s50                                 // 000000003004: 803332FF 00002080
	s_cmp_eq_u32 s61, 1                                        // 00000000300C: BF06813D
	s_cbranch_scc0 label_01B2                                  // 000000003010: BF84002D
	s_cmp_eq_i32 s53, 0                                        // 000000003014: BF008035
	s_cbranch_scc0 label_01B2                                  // 000000003018: BF84002B
	s_mul_i32 s31, 2, s26                                      // 00000000301C: 921F1A82
	s_mov_b32 s38, s31                                         // 000000003020: BEA6001F
	v_lshrrev_b32_e32 v4, 4, v0                                // 000000003024: 20080084
	v_mul_i32_i24_e32 v50, 8, v4                               // 000000003028: 0C640888
	s_mul_i32 s31, 32, s24                                     // 00000000302C: 921F18A0
	v_add_u32_e32 v50, s31, v50                                // 000000003030: 6864641F
	s_mul_i32 s32, s22, 64                                     // 000000003034: 9220C016
	s_mul_i32 s32, s32, 2                                      // 000000003038: 92208220
	v_add_u32_e32 v50, s32, v50                                // 00000000303C: 68646420
	v_mov_b32_e32 v52, 0                                       // 000000003040: 7E680280
	v_mov_b32_e32 v53, 0                                       // 000000003044: 7E6A0280
	buffer_load_dwordx2 v[52:53], v50, s[36:39], 0 offen       // 000000003048: E0541000 80093432
	s_waitcnt vmcnt(0)                                         // 000000003050: BF8C0F70
	v_mov_b32_e32 v4, 0xffff0000                               // 000000003054: 7E0802FF FFFF0000
	v_and_b32_e32 v4, v52, v4                                  // 00000000305C: 26080934
	v_mov_b32_e32 v5, 0xffff                                   // 000000003060: 7E0A02FF 0000FFFF
	v_and_b32_e32 v5, v52, v5                                  // 000000003068: 260A0B34
	v_mov_b32_e32 v55, v4                                      // 00000000306C: 7E6E0304
	v_lshlrev_b32_e32 v54, 16, v5                              // 000000003070: 246C0A90
	v_mov_b32_e32 v4, 0xffff0000                               // 000000003074: 7E0802FF FFFF0000
	v_and_b32_e32 v4, v53, v4                                  // 00000000307C: 26080935
	v_mov_b32_e32 v5, 0xffff                                   // 000000003080: 7E0A02FF 0000FFFF
	v_and_b32_e32 v5, v53, v5                                  // 000000003088: 260A0B35
	v_mov_b32_e32 v57, v4                                      // 00000000308C: 7E720304
	v_lshlrev_b32_e32 v56, 16, v5                              // 000000003090: 24700A90
	v_mov_b32_e32 v32, v54                                     // 000000003094: 7E400336
	v_mov_b32_e32 v33, v55                                     // 000000003098: 7E420337
	v_mov_b32_e32 v34, v56                                     // 00000000309C: 7E440338
	v_mov_b32_e32 v35, v57                                     // 0000000030A0: 7E460339
	v_mov_b32_e32 v36, v54                                     // 0000000030A4: 7E480336
	v_mov_b32_e32 v37, v55                                     // 0000000030A8: 7E4A0337
	v_mov_b32_e32 v38, v56                                     // 0000000030AC: 7E4C0338
	v_mov_b32_e32 v39, v57                                     // 0000000030B0: 7E4E0339
	v_mov_b32_e32 v40, v54                                     // 0000000030B4: 7E500336
	v_mov_b32_e32 v41, v55                                     // 0000000030B8: 7E520337
	v_mov_b32_e32 v42, v56                                     // 0000000030BC: 7E540338
	v_mov_b32_e32 v43, v57                                     // 0000000030C0: 7E560339
	s_branch label_01BE                                        // 0000000030C4: BF82000C

00000000000030c8 <label_01B2>:
	v_mov_b32_e32 v32, 0                                       // 0000000030C8: 7E400280
	v_mov_b32_e32 v33, 0                                       // 0000000030CC: 7E420280
	v_mov_b32_e32 v34, 0                                       // 0000000030D0: 7E440280
	v_mov_b32_e32 v35, 0                                       // 0000000030D4: 7E460280
	v_mov_b32_e32 v36, 0                                       // 0000000030D8: 7E480280
	v_mov_b32_e32 v37, 0                                       // 0000000030DC: 7E4A0280
	v_mov_b32_e32 v38, 0                                       // 0000000030E0: 7E4C0280
	v_mov_b32_e32 v39, 0                                       // 0000000030E4: 7E4E0280
	v_mov_b32_e32 v40, 0                                       // 0000000030E8: 7E500280
	v_mov_b32_e32 v41, 0                                       // 0000000030EC: 7E520280
	v_mov_b32_e32 v42, 0                                       // 0000000030F0: 7E540280
	v_mov_b32_e32 v43, 0                                       // 0000000030F4: 7E560280

00000000000030f8 <label_01BE>:
	s_add_u32 m0, 0, s46                                       // 0000000030F8: 807C2E80
	buffer_load_dword v16, s[4:7], 0 offen lds                 // 0000000030FC: E0511000 80010010
	s_add_u32 m0, 0x100, s46                                   // 000000003104: 807C2EFF 00000100
	buffer_load_dword v17, s[4:7], 0 offen lds                 // 00000000310C: E0511000 80010011
	s_add_u32 m0, 0x200, s46                                   // 000000003114: 807C2EFF 00000200
	buffer_load_dword v18, s[4:7], 0 offen lds                 // 00000000311C: E0511000 80010012
	s_add_u32 m0, 0x300, s46                                   // 000000003124: 807C2EFF 00000300
	buffer_load_dword v19, s[4:7], 0 offen lds                 // 00000000312C: E0511000 80010013
	s_add_u32 m0, 0x400, s46                                   // 000000003134: 807C2EFF 00000400
	buffer_load_dword v20, s[4:7], 0 offen lds                 // 00000000313C: E0511000 80010014
	s_add_u32 m0, 0x500, s46                                   // 000000003144: 807C2EFF 00000500
	buffer_load_dword v21, s[4:7], 0 offen lds                 // 00000000314C: E0511000 80010015
	s_add_u32 s4, s44, s4                                      // 000000003154: 8004042C
	s_addc_u32 s5, 0, s5                                       // 000000003158: 82050580
	s_sub_u32 s6, s6, s44                                      // 00000000315C: 80862C06
	s_add_u32 m0, 0, s49                                       // 000000003160: 807C3180
	buffer_load_dword v23, s[8:11], 0 offen lds                // 000000003164: E0511000 80020017
	s_add_u32 m0, 0x100, s49                                   // 00000000316C: 807C31FF 00000100
	buffer_load_dword v24, s[8:11], 0 offen lds                // 000000003174: E0511000 80020018
	s_add_u32 m0, 0x200, s49                                   // 00000000317C: 807C31FF 00000200
	buffer_load_dword v25, s[8:11], 0 offen lds                // 000000003184: E0511000 80020019
	s_add_u32 m0, 0x300, s49                                   // 00000000318C: 807C31FF 00000300
	buffer_load_dword v26, s[8:11], 0 offen lds                // 000000003194: E0511000 8002001A
	s_add_u32 m0, 0x400, s49                                   // 00000000319C: 807C31FF 00000400
	buffer_load_dword v27, s[8:11], 0 offen lds                // 0000000031A4: E0511000 8002001B
	s_add_u32 m0, 0x500, s49                                   // 0000000031AC: 807C31FF 00000500
	buffer_load_dword v28, s[8:11], 0 offen lds                // 0000000031B4: E0511000 8002001C
	s_add_u32 m0, 0x600, s49                                   // 0000000031BC: 807C31FF 00000600
	buffer_load_dword v29, s[8:11], 0 offen lds                // 0000000031C4: E0511000 8002001D
	s_add_u32 m0, 0x700, s49                                   // 0000000031CC: 807C31FF 00000700
	buffer_load_dword v30, s[8:11], 0 offen lds                // 0000000031D4: E0511000 8002001E
	s_add_u32 s8, s45, s8                                      // 0000000031DC: 8008082D
	s_addc_u32 s9, 0, s9                                       // 0000000031E0: 82090980
	s_sub_u32 s10, s10, s45                                    // 0000000031E4: 808A2D0A
	s_add_u32 m0, 0, s47                                       // 0000000031E8: 807C2F80
	buffer_load_dword v16, s[4:7], 0 offen lds                 // 0000000031EC: E0511000 80010010
	s_add_u32 m0, 0x100, s47                                   // 0000000031F4: 807C2FFF 00000100
	buffer_load_dword v17, s[4:7], 0 offen lds                 // 0000000031FC: E0511000 80010011
	s_add_u32 m0, 0x200, s47                                   // 000000003204: 807C2FFF 00000200
	buffer_load_dword v18, s[4:7], 0 offen lds                 // 00000000320C: E0511000 80010012
	s_add_u32 m0, 0x300, s47                                   // 000000003214: 807C2FFF 00000300
	buffer_load_dword v19, s[4:7], 0 offen lds                 // 00000000321C: E0511000 80010013
	s_add_u32 m0, 0x400, s47                                   // 000000003224: 807C2FFF 00000400
	buffer_load_dword v20, s[4:7], 0 offen lds                 // 00000000322C: E0511000 80010014
	s_add_u32 m0, 0x500, s47                                   // 000000003234: 807C2FFF 00000500
	buffer_load_dword v21, s[4:7], 0 offen lds                 // 00000000323C: E0511000 80010015
	s_add_u32 s4, s44, s4                                      // 000000003244: 8004042C
	s_addc_u32 s5, 0, s5                                       // 000000003248: 82050580
	s_sub_u32 s6, s6, s44                                      // 00000000324C: 80862C06
	s_add_u32 m0, 0, s50                                       // 000000003250: 807C3280
	buffer_load_dword v23, s[8:11], 0 offen lds                // 000000003254: E0511000 80020017
	s_add_u32 m0, 0x100, s50                                   // 00000000325C: 807C32FF 00000100
	buffer_load_dword v24, s[8:11], 0 offen lds                // 000000003264: E0511000 80020018
	s_add_u32 m0, 0x200, s50                                   // 00000000326C: 807C32FF 00000200
	buffer_load_dword v25, s[8:11], 0 offen lds                // 000000003274: E0511000 80020019
	s_add_u32 m0, 0x300, s50                                   // 00000000327C: 807C32FF 00000300
	buffer_load_dword v26, s[8:11], 0 offen lds                // 000000003284: E0511000 8002001A
	s_add_u32 m0, 0x400, s50                                   // 00000000328C: 807C32FF 00000400
	buffer_load_dword v27, s[8:11], 0 offen lds                // 000000003294: E0511000 8002001B
	s_add_u32 m0, 0x500, s50                                   // 00000000329C: 807C32FF 00000500
	buffer_load_dword v28, s[8:11], 0 offen lds                // 0000000032A4: E0511000 8002001C
	s_add_u32 m0, 0x600, s50                                   // 0000000032AC: 807C32FF 00000600
	buffer_load_dword v29, s[8:11], 0 offen lds                // 0000000032B4: E0511000 8002001D
	s_add_u32 m0, 0x700, s50                                   // 0000000032BC: 807C32FF 00000700
	buffer_load_dword v30, s[8:11], 0 offen lds                // 0000000032C4: E0511000 8002001E
	s_add_u32 s8, s45, s8                                      // 0000000032CC: 8008082D
	s_addc_u32 s9, 0, s9                                       // 0000000032D0: 82090980
	s_sub_u32 s10, s10, s45                                    // 0000000032D4: 808A2D0A
	s_add_u32 m0, 0, s48                                       // 0000000032D8: 807C3080
	buffer_load_dword v16, s[4:7], 0 offen lds                 // 0000000032DC: E0511000 80010010
	s_add_u32 m0, 0x100, s48                                   // 0000000032E4: 807C30FF 00000100
	buffer_load_dword v17, s[4:7], 0 offen lds                 // 0000000032EC: E0511000 80010011
	s_add_u32 m0, 0x200, s48                                   // 0000000032F4: 807C30FF 00000200
	buffer_load_dword v18, s[4:7], 0 offen lds                 // 0000000032FC: E0511000 80010012
	s_add_u32 m0, 0x300, s48                                   // 000000003304: 807C30FF 00000300
	buffer_load_dword v19, s[4:7], 0 offen lds                 // 00000000330C: E0511000 80010013
	s_add_u32 m0, 0x400, s48                                   // 000000003314: 807C30FF 00000400
	buffer_load_dword v20, s[4:7], 0 offen lds                 // 00000000331C: E0511000 80010014
	s_add_u32 m0, 0x500, s48                                   // 000000003324: 807C30FF 00000500
	buffer_load_dword v21, s[4:7], 0 offen lds                 // 00000000332C: E0511000 80010015
	s_add_u32 s4, s44, s4                                      // 000000003334: 8004042C
	s_addc_u32 s5, 0, s5                                       // 000000003338: 82050580
	s_sub_u32 s6, s6, s44                                      // 00000000333C: 80862C06
	s_add_u32 m0, 0, s51                                       // 000000003340: 807C3380
	buffer_load_dword v23, s[8:11], 0 offen lds                // 000000003344: E0511000 80020017
	s_add_u32 m0, 0x100, s51                                   // 00000000334C: 807C33FF 00000100
	buffer_load_dword v24, s[8:11], 0 offen lds                // 000000003354: E0511000 80020018
	s_add_u32 m0, 0x200, s51                                   // 00000000335C: 807C33FF 00000200
	buffer_load_dword v25, s[8:11], 0 offen lds                // 000000003364: E0511000 80020019
	s_add_u32 m0, 0x300, s51                                   // 00000000336C: 807C33FF 00000300
	buffer_load_dword v26, s[8:11], 0 offen lds                // 000000003374: E0511000 8002001A
	s_add_u32 m0, 0x400, s51                                   // 00000000337C: 807C33FF 00000400
	buffer_load_dword v27, s[8:11], 0 offen lds                // 000000003384: E0511000 8002001B
	s_add_u32 m0, 0x500, s51                                   // 00000000338C: 807C33FF 00000500
	buffer_load_dword v28, s[8:11], 0 offen lds                // 000000003394: E0511000 8002001C
	s_add_u32 m0, 0x600, s51                                   // 00000000339C: 807C33FF 00000600
	buffer_load_dword v29, s[8:11], 0 offen lds                // 0000000033A4: E0511000 8002001D
	s_add_u32 m0, 0x700, s51                                   // 0000000033AC: 807C33FF 00000700
	buffer_load_dword v30, s[8:11], 0 offen lds                // 0000000033B4: E0511000 8002001E
	s_add_u32 s8, s45, s8                                      // 0000000033BC: 8008082D
	s_addc_u32 s9, 0, s9                                       // 0000000033C0: 82090980
	s_sub_u32 s10, s10, s45                                    // 0000000033C4: 808A2D0A
	s_mov_b32 s34, s27                                         // 0000000033C8: BEA2001B
	s_mov_b32 s33, 0                                           // 0000000033CC: BEA10080
	s_mul_i32 s31, s23, 48                                     // 0000000033D0: 921FB017
	s_sub_i32 s55, s25, s31                                    // 0000000033D4: 81B71F19
	s_waitcnt vmcnt(28)                                        // 0000000033D8: BF8C4F7C
	s_barrier                                                  // 0000000033DC: BF8A0000
	s_waitcnt lgkmcnt(0)                                       // 0000000033E0: BF8CC07F
	s_or_b32 s31, s53, s24                                     // 0000000033E4: 871F1835
	s_cmp_eq_u32 s31, 0                                        // 0000000033E8: BF06801F
	s_cbranch_scc0 label_027E                                  // 0000000033EC: BF840002
	s_store_dword s52, s[40:41], s62 glc                       // 0000000033F0: C0410D14 0000003E

00000000000033f8 <label_027E>:
	ds_read_b128 a[0:3], v22                                   // 0000000033F8: DBFE0000 00000016
	ds_read_b128 a[4:7], v22 offset:64                         // 000000003400: DBFE0040 04000016
	ds_read_b128 a[8:11], v22 offset:512                       // 000000003408: DBFE0200 08000016
	ds_read_b128 a[12:15], v22 offset:576                      // 000000003410: DBFE0240 0C000016
	ds_read_b128 a[16:19], v22 offset:1024                     // 000000003418: DBFE0400 10000016
	ds_read_b128 a[20:23], v22 offset:1088                     // 000000003420: DBFE0440 14000016
	ds_read_b128 a[48:51], v31 offset:18816                    // 000000003428: DBFE4980 3000001F
	ds_read_b128 a[52:55], v31 offset:18880                    // 000000003430: DBFE49C0 3400001F
	s_cmp_lt_i32 s24, 2                                        // 000000003438: BF048218
	s_cbranch_scc0 label_052B                                  // 00000000343C: BF84029B

0000000000003440 <label_0290>:
	s_waitcnt vmcnt(14) lgkmcnt(0)                             // 000000003440: BF8C007E
	s_barrier                                                  // 000000003444: BF8A0000
	v_mfma_f32_16x16x16_bf16 v[32:35], a[48:49], a[0:1], v[32:35]// 000000003448: D3E10020 1C820130
	s_add_u32 m0, 0, s46                                       // 000000003450: 807C2E80
	buffer_load_dword v16, s[4:7], 0 offen lds                 // 000000003454: E0511000 80010010
	v_mfma_f32_16x16x16_bf16 v[32:35], a[50:51], a[2:3], v[32:35]// 00000000345C: D3E10020 1C820532
	s_add_u32 m0, 0x100, s46                                   // 000000003464: 807C2EFF 00000100
	buffer_load_dword v17, s[4:7], 0 offen lds                 // 00000000346C: E0511000 80010011
	ds_read_b128 a[24:27], v22 offset:6272                     // 000000003474: DBFE1880 18000016
	ds_read_b128 a[28:31], v22 offset:6336                     // 00000000347C: DBFE18C0 1C000016
	v_mfma_f32_16x16x16_bf16 v[32:35], a[52:53], a[4:5], v[32:35]// 000000003484: D3E10020 1C820934
	s_add_u32 m0, 0x200, s46                                   // 00000000348C: 807C2EFF 00000200
	buffer_load_dword v18, s[4:7], 0 offen lds                 // 000000003494: E0511000 80010012
	v_mfma_f32_16x16x16_bf16 v[32:35], a[54:55], a[6:7], v[32:35]// 00000000349C: D3E10020 1C820D36
	s_add_u32 m0, 0x300, s46                                   // 0000000034A4: 807C2EFF 00000300
	buffer_load_dword v19, s[4:7], 0 offen lds                 // 0000000034AC: E0511000 80010013
	ds_read_b128 a[32:35], v22 offset:6784                     // 0000000034B4: DBFE1A80 20000016
	ds_read_b128 a[36:39], v22 offset:6848                     // 0000000034BC: DBFE1AC0 24000016
	v_mfma_f32_16x16x16_bf16 v[36:39], a[48:49], a[8:9], v[36:39]// 0000000034C4: D3E10024 1C921130
	s_add_u32 m0, 0x400, s46                                   // 0000000034CC: 807C2EFF 00000400
	buffer_load_dword v20, s[4:7], 0 offen lds                 // 0000000034D4: E0511000 80010014
	v_mfma_f32_16x16x16_bf16 v[36:39], a[50:51], a[10:11], v[36:39]// 0000000034DC: D3E10024 1C921532
	s_add_u32 m0, 0x500, s46                                   // 0000000034E4: 807C2EFF 00000500
	buffer_load_dword v21, s[4:7], 0 offen lds                 // 0000000034EC: E0511000 80010015
	ds_read_b128 a[40:43], v22 offset:7296                     // 0000000034F4: DBFE1C80 28000016
	ds_read_b128 a[44:47], v22 offset:7360                     // 0000000034FC: DBFE1CC0 2C000016
	v_mfma_f32_16x16x16_bf16 v[36:39], a[52:53], a[12:13], v[36:39]// 000000003504: D3E10024 1C921934
	s_add_u32 s31, 0x100, s33                                  // 00000000350C: 801F21FF 00000100
	s_cmp_lt_u32 s31, s34                                      // 000000003514: BF0A221F
	s_cselect_b32 s44, s44, 0                                  // 000000003518: 852C802C
	s_add_u32 m0, 0, s49                                       // 00000000351C: 807C3180
	buffer_load_dword v23, s[8:11], 0 offen lds                // 000000003520: E0511000 80020017
	v_mfma_f32_16x16x16_bf16 v[36:39], a[54:55], a[14:15], v[36:39]// 000000003528: D3E10024 1C921D36
	s_add_u32 m0, 0x100, s49                                   // 000000003530: 807C31FF 00000100
	buffer_load_dword v24, s[8:11], 0 offen lds                // 000000003538: E0511000 80020018
	s_add_u32 s4, s44, s4                                      // 000000003540: 8004042C
	s_addc_u32 s5, 0, s5                                       // 000000003544: 82050580
	ds_read_b128 a[56:59], v31 offset:27136                    // 000000003548: DBFE6A00 3800001F
	ds_read_b128 a[60:63], v31 offset:27200                    // 000000003550: DBFE6A40 3C00001F
	v_mfma_f32_16x16x16_bf16 v[40:43], a[48:49], a[16:17], v[40:43]// 000000003558: D3E10028 1CA22130
	s_add_u32 m0, 0x200, s49                                   // 000000003560: 807C31FF 00000200
	buffer_load_dword v25, s[8:11], 0 offen lds                // 000000003568: E0511000 80020019
	v_mfma_f32_16x16x16_bf16 v[40:43], a[50:51], a[18:19], v[40:43]// 000000003570: D3E10028 1CA22532
	s_add_u32 m0, 0x300, s49                                   // 000000003578: 807C31FF 00000300
	buffer_load_dword v26, s[8:11], 0 offen lds                // 000000003580: E0511000 8002001A
	v_mfma_f32_16x16x16_bf16 v[40:43], a[52:53], a[20:21], v[40:43]// 000000003588: D3E10028 1CA22934
	s_add_u32 m0, 0x400, s49                                   // 000000003590: 807C31FF 00000400
	buffer_load_dword v27, s[8:11], 0 offen lds                // 000000003598: E0511000 8002001B
	v_mfma_f32_16x16x16_bf16 v[40:43], a[54:55], a[22:23], v[40:43]// 0000000035A0: D3E10028 1CA22D36
	s_add_u32 m0, 0x500, s49                                   // 0000000035A8: 807C31FF 00000500
	buffer_load_dword v28, s[8:11], 0 offen lds                // 0000000035B0: E0511000 8002001C
	s_add_u32 m0, 0x600, s49                                   // 0000000035B8: 807C31FF 00000600
	buffer_load_dword v29, s[8:11], 0 offen lds                // 0000000035C0: E0511000 8002001D
	s_add_u32 m0, 0x700, s49                                   // 0000000035C8: 807C31FF 00000700
	buffer_load_dword v30, s[8:11], 0 offen lds                // 0000000035D0: E0511000 8002001E
	s_add_u32 s31, 0x100, s33                                  // 0000000035D8: 801F21FF 00000100
	s_cmp_lt_u32 s31, s34                                      // 0000000035E0: BF0A221F
	s_cselect_b32 s45, s45, 0                                  // 0000000035E4: 852D802D
	s_add_u32 s8, s45, s8                                      // 0000000035E8: 8008082D
	s_addc_u32 s9, 0, s9                                       // 0000000035EC: 82090980
	s_addk_i32 s33, 0x40                                       // 0000000035F0: B7210040
	s_cmp_lt_i32 s33, s34                                      // 0000000035F4: BF042221
	s_cbranch_scc0 label_07C6                                  // 0000000035F8: BF8404C7
	s_waitcnt vmcnt(14) lgkmcnt(0)                             // 0000000035FC: BF8C007E
	s_barrier                                                  // 000000003600: BF8A0000
	v_mfma_f32_16x16x16_bf16 v[32:35], a[56:57], a[24:25], v[32:35]// 000000003604: D3E10020 1C823138
	s_add_u32 m0, 0, s47                                       // 00000000360C: 807C2F80
	buffer_load_dword v16, s[4:7], 0 offen lds                 // 000000003610: E0511000 80010010
	v_mfma_f32_16x16x16_bf16 v[32:35], a[58:59], a[26:27], v[32:35]// 000000003618: D3E10020 1C82353A
	s_add_u32 m0, 0x100, s47                                   // 000000003620: 807C2FFF 00000100
	buffer_load_dword v17, s[4:7], 0 offen lds                 // 000000003628: E0511000 80010011
	ds_read_b128 a[0:3], v22 offset:12544                      // 000000003630: DBFE3100 00000016
	ds_read_b128 a[4:7], v22 offset:12608                      // 000000003638: DBFE3140 04000016
	v_mfma_f32_16x16x16_bf16 v[32:35], a[60:61], a[28:29], v[32:35]// 000000003640: D3E10020 1C82393C
	s_add_u32 m0, 0x200, s47                                   // 000000003648: 807C2FFF 00000200
	buffer_load_dword v18, s[4:7], 0 offen lds                 // 000000003650: E0511000 80010012
	v_mfma_f32_16x16x16_bf16 v[32:35], a[62:63], a[30:31], v[32:35]// 000000003658: D3E10020 1C823D3E
	s_add_u32 m0, 0x300, s47                                   // 000000003660: 807C2FFF 00000300
	buffer_load_dword v19, s[4:7], 0 offen lds                 // 000000003668: E0511000 80010013
	ds_read_b128 a[8:11], v22 offset:13056                     // 000000003670: DBFE3300 08000016
	ds_read_b128 a[12:15], v22 offset:13120                    // 000000003678: DBFE3340 0C000016
	v_mfma_f32_16x16x16_bf16 v[36:39], a[56:57], a[32:33], v[36:39]// 000000003680: D3E10024 1C924138
	s_add_u32 m0, 0x400, s47                                   // 000000003688: 807C2FFF 00000400
	buffer_load_dword v20, s[4:7], 0 offen lds                 // 000000003690: E0511000 80010014
	v_mfma_f32_16x16x16_bf16 v[36:39], a[58:59], a[34:35], v[36:39]// 000000003698: D3E10024 1C92453A
	s_add_u32 m0, 0x500, s47                                   // 0000000036A0: 807C2FFF 00000500
	buffer_load_dword v21, s[4:7], 0 offen lds                 // 0000000036A8: E0511000 80010015
	ds_read_b128 a[16:19], v22 offset:13568                    // 0000000036B0: DBFE3500 10000016
	ds_read_b128 a[20:23], v22 offset:13632                    // 0000000036B8: DBFE3540 14000016
	v_mfma_f32_16x16x16_bf16 v[36:39], a[60:61], a[36:37], v[36:39]// 0000000036C0: D3E10024 1C92493C
	s_add_u32 s31, 0x100, s33                                  // 0000000036C8: 801F21FF 00000100
	s_cmp_lt_u32 s31, s34                                      // 0000000036D0: BF0A221F
	s_cselect_b32 s44, s44, 0                                  // 0000000036D4: 852C802C
	s_add_u32 m0, 0, s50                                       // 0000000036D8: 807C3280
	buffer_load_dword v23, s[8:11], 0 offen lds                // 0000000036DC: E0511000 80020017
	v_mfma_f32_16x16x16_bf16 v[36:39], a[62:63], a[38:39], v[36:39]// 0000000036E4: D3E10024 1C924D3E
	s_add_u32 m0, 0x100, s50                                   // 0000000036EC: 807C32FF 00000100
	buffer_load_dword v24, s[8:11], 0 offen lds                // 0000000036F4: E0511000 80020018
	s_add_u32 s4, s44, s4                                      // 0000000036FC: 8004042C
	s_addc_u32 s5, 0, s5                                       // 000000003700: 82050580
	ds_read_b128 a[48:51], v31 offset:35456                    // 000000003704: DBFE8A80 3000001F
	ds_read_b128 a[52:55], v31 offset:35520                    // 00000000370C: DBFE8AC0 3400001F
	v_mfma_f32_16x16x16_bf16 v[40:43], a[56:57], a[40:41], v[40:43]// 000000003714: D3E10028 1CA25138
	s_add_u32 m0, 0x200, s50                                   // 00000000371C: 807C32FF 00000200
	buffer_load_dword v25, s[8:11], 0 offen lds                // 000000003724: E0511000 80020019
	v_mfma_f32_16x16x16_bf16 v[40:43], a[58:59], a[42:43], v[40:43]// 00000000372C: D3E10028 1CA2553A
	s_add_u32 m0, 0x300, s50                                   // 000000003734: 807C32FF 00000300
	buffer_load_dword v26, s[8:11], 0 offen lds                // 00000000373C: E0511000 8002001A
	v_mfma_f32_16x16x16_bf16 v[40:43], a[60:61], a[44:45], v[40:43]// 000000003744: D3E10028 1CA2593C
	s_add_u32 m0, 0x400, s50                                   // 00000000374C: 807C32FF 00000400
	buffer_load_dword v27, s[8:11], 0 offen lds                // 000000003754: E0511000 8002001B
	v_mfma_f32_16x16x16_bf16 v[40:43], a[62:63], a[46:47], v[40:43]// 00000000375C: D3E10028 1CA25D3E
	s_add_u32 m0, 0x500, s50                                   // 000000003764: 807C32FF 00000500
	buffer_load_dword v28, s[8:11], 0 offen lds                // 00000000376C: E0511000 8002001C
	s_add_u32 m0, 0x600, s50                                   // 000000003774: 807C32FF 00000600
	buffer_load_dword v29, s[8:11], 0 offen lds                // 00000000377C: E0511000 8002001D
	s_add_u32 m0, 0x700, s50                                   // 000000003784: 807C32FF 00000700
	buffer_load_dword v30, s[8:11], 0 offen lds                // 00000000378C: E0511000 8002001E
	s_add_u32 s31, 0x100, s33                                  // 000000003794: 801F21FF 00000100
	s_cmp_lt_u32 s31, s34                                      // 00000000379C: BF0A221F
	s_cselect_b32 s45, s45, 0                                  // 0000000037A0: 852D802D
	s_add_u32 s8, s45, s8                                      // 0000000037A4: 8008082D
	s_addc_u32 s9, 0, s9                                       // 0000000037A8: 82090980
	s_addk_i32 s33, 0x40                                       // 0000000037AC: B7210040
	s_cmp_lt_i32 s33, s34                                      // 0000000037B0: BF042221
	s_cbranch_scc0 label_07C6                                  // 0000000037B4: BF840458
	s_waitcnt vmcnt(14) lgkmcnt(0)                             // 0000000037B8: BF8C007E
	s_barrier                                                  // 0000000037BC: BF8A0000
	v_mfma_f32_16x16x16_bf16 v[32:35], a[48:49], a[0:1], v[32:35]// 0000000037C0: D3E10020 1C820130
	s_add_u32 m0, 0, s48                                       // 0000000037C8: 807C3080
	buffer_load_dword v16, s[4:7], 0 offen lds                 // 0000000037CC: E0511000 80010010
	v_mfma_f32_16x16x16_bf16 v[32:35], a[50:51], a[2:3], v[32:35]// 0000000037D4: D3E10020 1C820532
	s_add_u32 m0, 0x100, s48                                   // 0000000037DC: 807C30FF 00000100
	buffer_load_dword v17, s[4:7], 0 offen lds                 // 0000000037E4: E0511000 80010011
	ds_read_b128 a[24:27], v22                                 // 0000000037EC: DBFE0000 18000016
	ds_read_b128 a[28:31], v22 offset:64                       // 0000000037F4: DBFE0040 1C000016
	v_mfma_f32_16x16x16_bf16 v[32:35], a[52:53], a[4:5], v[32:35]// 0000000037FC: D3E10020 1C820934
	s_add_u32 m0, 0x200, s48                                   // 000000003804: 807C30FF 00000200
	buffer_load_dword v18, s[4:7], 0 offen lds                 // 00000000380C: E0511000 80010012
	v_mfma_f32_16x16x16_bf16 v[32:35], a[54:55], a[6:7], v[32:35]// 000000003814: D3E10020 1C820D36
	s_add_u32 m0, 0x300, s48                                   // 00000000381C: 807C30FF 00000300
	buffer_load_dword v19, s[4:7], 0 offen lds                 // 000000003824: E0511000 80010013
	ds_read_b128 a[32:35], v22 offset:512                      // 00000000382C: DBFE0200 20000016
	ds_read_b128 a[36:39], v22 offset:576                      // 000000003834: DBFE0240 24000016
	v_mfma_f32_16x16x16_bf16 v[36:39], a[48:49], a[8:9], v[36:39]// 00000000383C: D3E10024 1C921130
	s_add_u32 m0, 0x400, s48                                   // 000000003844: 807C30FF 00000400
	buffer_load_dword v20, s[4:7], 0 offen lds                 // 00000000384C: E0511000 80010014
	v_mfma_f32_16x16x16_bf16 v[36:39], a[50:51], a[10:11], v[36:39]// 000000003854: D3E10024 1C921532
	s_add_u32 m0, 0x500, s48                                   // 00000000385C: 807C30FF 00000500
	buffer_load_dword v21, s[4:7], 0 offen lds                 // 000000003864: E0511000 80010015
	ds_read_b128 a[40:43], v22 offset:1024                     // 00000000386C: DBFE0400 28000016
	ds_read_b128 a[44:47], v22 offset:1088                     // 000000003874: DBFE0440 2C000016
	v_mfma_f32_16x16x16_bf16 v[36:39], a[52:53], a[12:13], v[36:39]// 00000000387C: D3E10024 1C921934
	s_add_u32 s31, 0x100, s33                                  // 000000003884: 801F21FF 00000100
	s_cmp_lt_u32 s31, s34                                      // 00000000388C: BF0A221F
	s_cselect_b32 s44, s44, 0                                  // 000000003890: 852C802C
	s_add_u32 m0, 0, s51                                       // 000000003894: 807C3380
	buffer_load_dword v23, s[8:11], 0 offen lds                // 000000003898: E0511000 80020017
	v_mfma_f32_16x16x16_bf16 v[36:39], a[54:55], a[14:15], v[36:39]// 0000000038A0: D3E10024 1C921D36
	s_add_u32 m0, 0x100, s51                                   // 0000000038A8: 807C33FF 00000100
	buffer_load_dword v24, s[8:11], 0 offen lds                // 0000000038B0: E0511000 80020018
	s_add_u32 s4, s44, s4                                      // 0000000038B8: 8004042C
	s_addc_u32 s5, 0, s5                                       // 0000000038BC: 82050580
	ds_read_b128 a[56:59], v31 offset:18816                    // 0000000038C0: DBFE4980 3800001F
	ds_read_b128 a[60:63], v31 offset:18880                    // 0000000038C8: DBFE49C0 3C00001F
	v_mfma_f32_16x16x16_bf16 v[40:43], a[48:49], a[16:17], v[40:43]// 0000000038D0: D3E10028 1CA22130
	s_add_u32 m0, 0x200, s51                                   // 0000000038D8: 807C33FF 00000200
	buffer_load_dword v25, s[8:11], 0 offen lds                // 0000000038E0: E0511000 80020019
	v_mfma_f32_16x16x16_bf16 v[40:43], a[50:51], a[18:19], v[40:43]// 0000000038E8: D3E10028 1CA22532
	s_add_u32 m0, 0x300, s51                                   // 0000000038F0: 807C33FF 00000300
	buffer_load_dword v26, s[8:11], 0 offen lds                // 0000000038F8: E0511000 8002001A
	v_mfma_f32_16x16x16_bf16 v[40:43], a[52:53], a[20:21], v[40:43]// 000000003900: D3E10028 1CA22934
	s_add_u32 m0, 0x400, s51                                   // 000000003908: 807C33FF 00000400
	buffer_load_dword v27, s[8:11], 0 offen lds                // 000000003910: E0511000 8002001B
	v_mfma_f32_16x16x16_bf16 v[40:43], a[54:55], a[22:23], v[40:43]// 000000003918: D3E10028 1CA22D36
	s_add_u32 m0, 0x500, s51                                   // 000000003920: 807C33FF 00000500
	buffer_load_dword v28, s[8:11], 0 offen lds                // 000000003928: E0511000 8002001C
	s_add_u32 m0, 0x600, s51                                   // 000000003930: 807C33FF 00000600
	buffer_load_dword v29, s[8:11], 0 offen lds                // 000000003938: E0511000 8002001D
	s_add_u32 m0, 0x700, s51                                   // 000000003940: 807C33FF 00000700
	buffer_load_dword v30, s[8:11], 0 offen lds                // 000000003948: E0511000 8002001E
	s_add_u32 s31, 0x100, s33                                  // 000000003950: 801F21FF 00000100
	s_cmp_lt_u32 s31, s34                                      // 000000003958: BF0A221F
	s_cselect_b32 s45, s45, 0                                  // 00000000395C: 852D802D
	s_add_u32 s8, s45, s8                                      // 000000003960: 8008082D
	s_addc_u32 s9, 0, s9                                       // 000000003964: 82090980
	s_addk_i32 s33, 0x40                                       // 000000003968: B7210040
	s_cmp_lt_i32 s33, s34                                      // 00000000396C: BF042221
	s_cbranch_scc0 label_07C6                                  // 000000003970: BF8403E9
	s_waitcnt vmcnt(14) lgkmcnt(0)                             // 000000003974: BF8C007E
	s_barrier                                                  // 000000003978: BF8A0000
	v_mfma_f32_16x16x16_bf16 v[32:35], a[56:57], a[24:25], v[32:35]// 00000000397C: D3E10020 1C823138
	s_add_u32 m0, 0, s46                                       // 000000003984: 807C2E80
	buffer_load_dword v16, s[4:7], 0 offen lds                 // 000000003988: E0511000 80010010
	v_mfma_f32_16x16x16_bf16 v[32:35], a[58:59], a[26:27], v[32:35]// 000000003990: D3E10020 1C82353A
	s_add_u32 m0, 0x100, s46                                   // 000000003998: 807C2EFF 00000100
	buffer_load_dword v17, s[4:7], 0 offen lds                 // 0000000039A0: E0511000 80010011
	ds_read_b128 a[0:3], v22 offset:6272                       // 0000000039A8: DBFE1880 00000016
	ds_read_b128 a[4:7], v22 offset:6336                       // 0000000039B0: DBFE18C0 04000016
	v_mfma_f32_16x16x16_bf16 v[32:35], a[60:61], a[28:29], v[32:35]// 0000000039B8: D3E10020 1C82393C
	s_add_u32 m0, 0x200, s46                                   // 0000000039C0: 807C2EFF 00000200
	buffer_load_dword v18, s[4:7], 0 offen lds                 // 0000000039C8: E0511000 80010012
	v_mfma_f32_16x16x16_bf16 v[32:35], a[62:63], a[30:31], v[32:35]// 0000000039D0: D3E10020 1C823D3E
	s_add_u32 m0, 0x300, s46                                   // 0000000039D8: 807C2EFF 00000300
	buffer_load_dword v19, s[4:7], 0 offen lds                 // 0000000039E0: E0511000 80010013
	ds_read_b128 a[8:11], v22 offset:6784                      // 0000000039E8: DBFE1A80 08000016
	ds_read_b128 a[12:15], v22 offset:6848                     // 0000000039F0: DBFE1AC0 0C000016
	v_mfma_f32_16x16x16_bf16 v[36:39], a[56:57], a[32:33], v[36:39]// 0000000039F8: D3E10024 1C924138
	s_add_u32 m0, 0x400, s46                                   // 000000003A00: 807C2EFF 00000400
	buffer_load_dword v20, s[4:7], 0 offen lds                 // 000000003A08: E0511000 80010014
	v_mfma_f32_16x16x16_bf16 v[36:39], a[58:59], a[34:35], v[36:39]// 000000003A10: D3E10024 1C92453A
	s_add_u32 m0, 0x500, s46                                   // 000000003A18: 807C2EFF 00000500
	buffer_load_dword v21, s[4:7], 0 offen lds                 // 000000003A20: E0511000 80010015
	ds_read_b128 a[16:19], v22 offset:7296                     // 000000003A28: DBFE1C80 10000016
	ds_read_b128 a[20:23], v22 offset:7360                     // 000000003A30: DBFE1CC0 14000016
	v_mfma_f32_16x16x16_bf16 v[36:39], a[60:61], a[36:37], v[36:39]// 000000003A38: D3E10024 1C92493C
	s_add_u32 s31, 0x100, s33                                  // 000000003A40: 801F21FF 00000100
	s_cmp_lt_u32 s31, s34                                      // 000000003A48: BF0A221F
	s_cselect_b32 s44, s44, 0                                  // 000000003A4C: 852C802C
	s_add_u32 m0, 0, s49                                       // 000000003A50: 807C3180
	buffer_load_dword v23, s[8:11], 0 offen lds                // 000000003A54: E0511000 80020017
	v_mfma_f32_16x16x16_bf16 v[36:39], a[62:63], a[38:39], v[36:39]// 000000003A5C: D3E10024 1C924D3E
	s_add_u32 m0, 0x100, s49                                   // 000000003A64: 807C31FF 00000100
	buffer_load_dword v24, s[8:11], 0 offen lds                // 000000003A6C: E0511000 80020018
	s_add_u32 s4, s44, s4                                      // 000000003A74: 8004042C
	s_addc_u32 s5, 0, s5                                       // 000000003A78: 82050580
	ds_read_b128 a[48:51], v31 offset:27136                    // 000000003A7C: DBFE6A00 3000001F
	ds_read_b128 a[52:55], v31 offset:27200                    // 000000003A84: DBFE6A40 3400001F
	v_mfma_f32_16x16x16_bf16 v[40:43], a[56:57], a[40:41], v[40:43]// 000000003A8C: D3E10028 1CA25138
	s_add_u32 m0, 0x200, s49                                   // 000000003A94: 807C31FF 00000200
	buffer_load_dword v25, s[8:11], 0 offen lds                // 000000003A9C: E0511000 80020019
	v_mfma_f32_16x16x16_bf16 v[40:43], a[58:59], a[42:43], v[40:43]// 000000003AA4: D3E10028 1CA2553A
	s_add_u32 m0, 0x300, s49                                   // 000000003AAC: 807C31FF 00000300
	buffer_load_dword v26, s[8:11], 0 offen lds                // 000000003AB4: E0511000 8002001A
	v_mfma_f32_16x16x16_bf16 v[40:43], a[60:61], a[44:45], v[40:43]// 000000003ABC: D3E10028 1CA2593C
	s_add_u32 m0, 0x400, s49                                   // 000000003AC4: 807C31FF 00000400
	buffer_load_dword v27, s[8:11], 0 offen lds                // 000000003ACC: E0511000 8002001B
	v_mfma_f32_16x16x16_bf16 v[40:43], a[62:63], a[46:47], v[40:43]// 000000003AD4: D3E10028 1CA25D3E
	s_add_u32 m0, 0x500, s49                                   // 000000003ADC: 807C31FF 00000500
	buffer_load_dword v28, s[8:11], 0 offen lds                // 000000003AE4: E0511000 8002001C
	s_add_u32 m0, 0x600, s49                                   // 000000003AEC: 807C31FF 00000600
	buffer_load_dword v29, s[8:11], 0 offen lds                // 000000003AF4: E0511000 8002001D
	s_add_u32 m0, 0x700, s49                                   // 000000003AFC: 807C31FF 00000700
	buffer_load_dword v30, s[8:11], 0 offen lds                // 000000003B04: E0511000 8002001E
	s_add_u32 s31, 0x100, s33                                  // 000000003B0C: 801F21FF 00000100
	s_cmp_lt_u32 s31, s34                                      // 000000003B14: BF0A221F
	s_cselect_b32 s45, s45, 0                                  // 000000003B18: 852D802D
	s_add_u32 s8, s45, s8                                      // 000000003B1C: 8008082D
	s_addc_u32 s9, 0, s9                                       // 000000003B20: 82090980
	s_addk_i32 s33, 0x40                                       // 000000003B24: B7210040
	s_cmp_lt_i32 s33, s34                                      // 000000003B28: BF042221
	s_cbranch_scc0 label_07C6                                  // 000000003B2C: BF84037A
	s_waitcnt vmcnt(14) lgkmcnt(0)                             // 000000003B30: BF8C007E
	s_barrier                                                  // 000000003B34: BF8A0000
	v_mfma_f32_16x16x16_bf16 v[32:35], a[48:49], a[0:1], v[32:35]// 000000003B38: D3E10020 1C820130
	s_add_u32 m0, 0, s47                                       // 000000003B40: 807C2F80
	buffer_load_dword v16, s[4:7], 0 offen lds                 // 000000003B44: E0511000 80010010
	v_mfma_f32_16x16x16_bf16 v[32:35], a[50:51], a[2:3], v[32:35]// 000000003B4C: D3E10020 1C820532
	s_add_u32 m0, 0x100, s47                                   // 000000003B54: 807C2FFF 00000100
	buffer_load_dword v17, s[4:7], 0 offen lds                 // 000000003B5C: E0511000 80010011
	ds_read_b128 a[24:27], v22 offset:12544                    // 000000003B64: DBFE3100 18000016
	ds_read_b128 a[28:31], v22 offset:12608                    // 000000003B6C: DBFE3140 1C000016
	v_mfma_f32_16x16x16_bf16 v[32:35], a[52:53], a[4:5], v[32:35]// 000000003B74: D3E10020 1C820934
	s_add_u32 m0, 0x200, s47                                   // 000000003B7C: 807C2FFF 00000200
	buffer_load_dword v18, s[4:7], 0 offen lds                 // 000000003B84: E0511000 80010012
	v_mfma_f32_16x16x16_bf16 v[32:35], a[54:55], a[6:7], v[32:35]// 000000003B8C: D3E10020 1C820D36
	s_add_u32 m0, 0x300, s47                                   // 000000003B94: 807C2FFF 00000300
	buffer_load_dword v19, s[4:7], 0 offen lds                 // 000000003B9C: E0511000 80010013
	ds_read_b128 a[32:35], v22 offset:13056                    // 000000003BA4: DBFE3300 20000016
	ds_read_b128 a[36:39], v22 offset:13120                    // 000000003BAC: DBFE3340 24000016
	v_mfma_f32_16x16x16_bf16 v[36:39], a[48:49], a[8:9], v[36:39]// 000000003BB4: D3E10024 1C921130
	s_add_u32 m0, 0x400, s47                                   // 000000003BBC: 807C2FFF 00000400
	buffer_load_dword v20, s[4:7], 0 offen lds                 // 000000003BC4: E0511000 80010014
	v_mfma_f32_16x16x16_bf16 v[36:39], a[50:51], a[10:11], v[36:39]// 000000003BCC: D3E10024 1C921532
	s_add_u32 m0, 0x500, s47                                   // 000000003BD4: 807C2FFF 00000500
	buffer_load_dword v21, s[4:7], 0 offen lds                 // 000000003BDC: E0511000 80010015
	ds_read_b128 a[40:43], v22 offset:13568                    // 000000003BE4: DBFE3500 28000016
	ds_read_b128 a[44:47], v22 offset:13632                    // 000000003BEC: DBFE3540 2C000016
	v_mfma_f32_16x16x16_bf16 v[36:39], a[52:53], a[12:13], v[36:39]// 000000003BF4: D3E10024 1C921934
	s_add_u32 s31, 0x100, s33                                  // 000000003BFC: 801F21FF 00000100
	s_cmp_lt_u32 s31, s34                                      // 000000003C04: BF0A221F
	s_cselect_b32 s44, s44, 0                                  // 000000003C08: 852C802C
	s_add_u32 m0, 0, s50                                       // 000000003C0C: 807C3280
	buffer_load_dword v23, s[8:11], 0 offen lds                // 000000003C10: E0511000 80020017
	v_mfma_f32_16x16x16_bf16 v[36:39], a[54:55], a[14:15], v[36:39]// 000000003C18: D3E10024 1C921D36
	s_add_u32 m0, 0x100, s50                                   // 000000003C20: 807C32FF 00000100
	buffer_load_dword v24, s[8:11], 0 offen lds                // 000000003C28: E0511000 80020018
	s_add_u32 s4, s44, s4                                      // 000000003C30: 8004042C
	s_addc_u32 s5, 0, s5                                       // 000000003C34: 82050580
	ds_read_b128 a[56:59], v31 offset:35456                    // 000000003C38: DBFE8A80 3800001F
	ds_read_b128 a[60:63], v31 offset:35520                    // 000000003C40: DBFE8AC0 3C00001F
	v_mfma_f32_16x16x16_bf16 v[40:43], a[48:49], a[16:17], v[40:43]// 000000003C48: D3E10028 1CA22130
	s_add_u32 m0, 0x200, s50                                   // 000000003C50: 807C32FF 00000200
	buffer_load_dword v25, s[8:11], 0 offen lds                // 000000003C58: E0511000 80020019
	v_mfma_f32_16x16x16_bf16 v[40:43], a[50:51], a[18:19], v[40:43]// 000000003C60: D3E10028 1CA22532
	s_add_u32 m0, 0x300, s50                                   // 000000003C68: 807C32FF 00000300
	buffer_load_dword v26, s[8:11], 0 offen lds                // 000000003C70: E0511000 8002001A
	v_mfma_f32_16x16x16_bf16 v[40:43], a[52:53], a[20:21], v[40:43]// 000000003C78: D3E10028 1CA22934
	s_add_u32 m0, 0x400, s50                                   // 000000003C80: 807C32FF 00000400
	buffer_load_dword v27, s[8:11], 0 offen lds                // 000000003C88: E0511000 8002001B
	v_mfma_f32_16x16x16_bf16 v[40:43], a[54:55], a[22:23], v[40:43]// 000000003C90: D3E10028 1CA22D36
	s_add_u32 m0, 0x500, s50                                   // 000000003C98: 807C32FF 00000500
	buffer_load_dword v28, s[8:11], 0 offen lds                // 000000003CA0: E0511000 8002001C
	s_add_u32 m0, 0x600, s50                                   // 000000003CA8: 807C32FF 00000600
	buffer_load_dword v29, s[8:11], 0 offen lds                // 000000003CB0: E0511000 8002001D
	s_add_u32 m0, 0x700, s50                                   // 000000003CB8: 807C32FF 00000700
	buffer_load_dword v30, s[8:11], 0 offen lds                // 000000003CC0: E0511000 8002001E
	s_add_u32 s31, 0x100, s33                                  // 000000003CC8: 801F21FF 00000100
	s_cmp_lt_u32 s31, s34                                      // 000000003CD0: BF0A221F
	s_cselect_b32 s45, s45, 0                                  // 000000003CD4: 852D802D
	s_add_u32 s8, s45, s8                                      // 000000003CD8: 8008082D
	s_addc_u32 s9, 0, s9                                       // 000000003CDC: 82090980
	s_addk_i32 s33, 0x40                                       // 000000003CE0: B7210040
	s_cmp_lt_i32 s33, s34                                      // 000000003CE4: BF042221
	s_cbranch_scc0 label_07C6                                  // 000000003CE8: BF84030B
	s_waitcnt vmcnt(14) lgkmcnt(0)                             // 000000003CEC: BF8C007E
	s_barrier                                                  // 000000003CF0: BF8A0000
	v_mfma_f32_16x16x16_bf16 v[32:35], a[56:57], a[24:25], v[32:35]// 000000003CF4: D3E10020 1C823138
	s_add_u32 m0, 0, s48                                       // 000000003CFC: 807C3080
	buffer_load_dword v16, s[4:7], 0 offen lds                 // 000000003D00: E0511000 80010010
	v_mfma_f32_16x16x16_bf16 v[32:35], a[58:59], a[26:27], v[32:35]// 000000003D08: D3E10020 1C82353A
	s_add_u32 m0, 0x100, s48                                   // 000000003D10: 807C30FF 00000100
	buffer_load_dword v17, s[4:7], 0 offen lds                 // 000000003D18: E0511000 80010011
	ds_read_b128 a[0:3], v22                                   // 000000003D20: DBFE0000 00000016
	ds_read_b128 a[4:7], v22 offset:64                         // 000000003D28: DBFE0040 04000016
	v_mfma_f32_16x16x16_bf16 v[32:35], a[60:61], a[28:29], v[32:35]// 000000003D30: D3E10020 1C82393C
	s_add_u32 m0, 0x200, s48                                   // 000000003D38: 807C30FF 00000200
	buffer_load_dword v18, s[4:7], 0 offen lds                 // 000000003D40: E0511000 80010012
	v_mfma_f32_16x16x16_bf16 v[32:35], a[62:63], a[30:31], v[32:35]// 000000003D48: D3E10020 1C823D3E
	s_add_u32 m0, 0x300, s48                                   // 000000003D50: 807C30FF 00000300
	buffer_load_dword v19, s[4:7], 0 offen lds                 // 000000003D58: E0511000 80010013
	ds_read_b128 a[8:11], v22 offset:512                       // 000000003D60: DBFE0200 08000016
	ds_read_b128 a[12:15], v22 offset:576                      // 000000003D68: DBFE0240 0C000016
	v_mfma_f32_16x16x16_bf16 v[36:39], a[56:57], a[32:33], v[36:39]// 000000003D70: D3E10024 1C924138
	s_add_u32 m0, 0x400, s48                                   // 000000003D78: 807C30FF 00000400
	buffer_load_dword v20, s[4:7], 0 offen lds                 // 000000003D80: E0511000 80010014
	v_mfma_f32_16x16x16_bf16 v[36:39], a[58:59], a[34:35], v[36:39]// 000000003D88: D3E10024 1C92453A
	s_add_u32 m0, 0x500, s48                                   // 000000003D90: 807C30FF 00000500
	buffer_load_dword v21, s[4:7], 0 offen lds                 // 000000003D98: E0511000 80010015
	ds_read_b128 a[16:19], v22 offset:1024                     // 000000003DA0: DBFE0400 10000016
	ds_read_b128 a[20:23], v22 offset:1088                     // 000000003DA8: DBFE0440 14000016
	v_mfma_f32_16x16x16_bf16 v[36:39], a[60:61], a[36:37], v[36:39]// 000000003DB0: D3E10024 1C92493C
	s_add_u32 s31, 0x100, s33                                  // 000000003DB8: 801F21FF 00000100
	s_cmp_lt_u32 s31, s34                                      // 000000003DC0: BF0A221F
	s_cselect_b32 s44, s44, 0                                  // 000000003DC4: 852C802C
	s_add_u32 m0, 0, s51                                       // 000000003DC8: 807C3380
	buffer_load_dword v23, s[8:11], 0 offen lds                // 000000003DCC: E0511000 80020017
	v_mfma_f32_16x16x16_bf16 v[36:39], a[62:63], a[38:39], v[36:39]// 000000003DD4: D3E10024 1C924D3E
	s_add_u32 m0, 0x100, s51                                   // 000000003DDC: 807C33FF 00000100
	buffer_load_dword v24, s[8:11], 0 offen lds                // 000000003DE4: E0511000 80020018
	s_add_u32 s4, s44, s4                                      // 000000003DEC: 8004042C
	s_addc_u32 s5, 0, s5                                       // 000000003DF0: 82050580
	ds_read_b128 a[48:51], v31 offset:18816                    // 000000003DF4: DBFE4980 3000001F
	ds_read_b128 a[52:55], v31 offset:18880                    // 000000003DFC: DBFE49C0 3400001F
	v_mfma_f32_16x16x16_bf16 v[40:43], a[56:57], a[40:41], v[40:43]// 000000003E04: D3E10028 1CA25138
	s_add_u32 m0, 0x200, s51                                   // 000000003E0C: 807C33FF 00000200
	buffer_load_dword v25, s[8:11], 0 offen lds                // 000000003E14: E0511000 80020019
	v_mfma_f32_16x16x16_bf16 v[40:43], a[58:59], a[42:43], v[40:43]// 000000003E1C: D3E10028 1CA2553A
	s_add_u32 m0, 0x300, s51                                   // 000000003E24: 807C33FF 00000300
	buffer_load_dword v26, s[8:11], 0 offen lds                // 000000003E2C: E0511000 8002001A
	v_mfma_f32_16x16x16_bf16 v[40:43], a[60:61], a[44:45], v[40:43]// 000000003E34: D3E10028 1CA2593C
	s_add_u32 m0, 0x400, s51                                   // 000000003E3C: 807C33FF 00000400
	buffer_load_dword v27, s[8:11], 0 offen lds                // 000000003E44: E0511000 8002001B
	v_mfma_f32_16x16x16_bf16 v[40:43], a[62:63], a[46:47], v[40:43]// 000000003E4C: D3E10028 1CA25D3E
	s_add_u32 m0, 0x500, s51                                   // 000000003E54: 807C33FF 00000500
	buffer_load_dword v28, s[8:11], 0 offen lds                // 000000003E5C: E0511000 8002001C
	s_add_u32 m0, 0x600, s51                                   // 000000003E64: 807C33FF 00000600
	buffer_load_dword v29, s[8:11], 0 offen lds                // 000000003E6C: E0511000 8002001D
	s_add_u32 m0, 0x700, s51                                   // 000000003E74: 807C33FF 00000700
	buffer_load_dword v30, s[8:11], 0 offen lds                // 000000003E7C: E0511000 8002001E
	s_add_u32 s31, 0x100, s33                                  // 000000003E84: 801F21FF 00000100
	s_cmp_lt_u32 s31, s34                                      // 000000003E8C: BF0A221F
	s_cselect_b32 s45, s45, 0                                  // 000000003E90: 852D802D
	s_add_u32 s8, s45, s8                                      // 000000003E94: 8008082D
	s_addc_u32 s9, 0, s9                                       // 000000003E98: 82090980
	s_addk_i32 s33, 0x40                                       // 000000003E9C: B7210040
	s_cmp_lt_i32 s33, s34                                      // 000000003EA0: BF042221
	s_cbranch_scc0 label_07C6                                  // 000000003EA4: BF84029C
	s_branch label_0290                                        // 000000003EA8: BF82FD65

0000000000003eac <label_052B>:
	s_waitcnt vmcnt(14) lgkmcnt(0)                             // 000000003EAC: BF8C007E
	s_barrier                                                  // 000000003EB0: BF8A0000
	v_mfma_f32_16x16x16_bf16 v[32:35], a[48:49], a[0:1], v[32:35]// 000000003EB4: D3E10020 1C820130
	s_add_u32 m0, 0, s46                                       // 000000003EBC: 807C2E80
	buffer_load_dword v16, s[4:7], 0 offen lds                 // 000000003EC0: E0511000 80010010
	ds_read_b128 a[24:27], v22 offset:6272                     // 000000003EC8: DBFE1880 18000016
	ds_read_b128 a[28:31], v22 offset:6336                     // 000000003ED0: DBFE18C0 1C000016
	v_mfma_f32_16x16x16_bf16 v[32:35], a[50:51], a[2:3], v[32:35]// 000000003ED8: D3E10020 1C820532
	s_add_u32 m0, 0x100, s46                                   // 000000003EE0: 807C2EFF 00000100
	buffer_load_dword v17, s[4:7], 0 offen lds                 // 000000003EE8: E0511000 80010011
	v_mfma_f32_16x16x16_bf16 v[32:35], a[52:53], a[4:5], v[32:35]// 000000003EF0: D3E10020 1C820934
	s_add_u32 m0, 0x200, s46                                   // 000000003EF8: 807C2EFF 00000200
	buffer_load_dword v18, s[4:7], 0 offen lds                 // 000000003F00: E0511000 80010012
	ds_read_b128 a[32:35], v22 offset:6784                     // 000000003F08: DBFE1A80 20000016
	ds_read_b128 a[36:39], v22 offset:6848                     // 000000003F10: DBFE1AC0 24000016
	v_mfma_f32_16x16x16_bf16 v[32:35], a[54:55], a[6:7], v[32:35]// 000000003F18: D3E10020 1C820D36
	s_add_u32 m0, 0x300, s46                                   // 000000003F20: 807C2EFF 00000300
	buffer_load_dword v19, s[4:7], 0 offen lds                 // 000000003F28: E0511000 80010013
	v_mfma_f32_16x16x16_bf16 v[36:39], a[48:49], a[8:9], v[36:39]// 000000003F30: D3E10024 1C921130
	s_add_u32 m0, 0x400, s46                                   // 000000003F38: 807C2EFF 00000400
	buffer_load_dword v20, s[4:7], 0 offen lds                 // 000000003F40: E0511000 80010014
	ds_read_b128 a[40:43], v22 offset:7296                     // 000000003F48: DBFE1C80 28000016
	ds_read_b128 a[44:47], v22 offset:7360                     // 000000003F50: DBFE1CC0 2C000016
	v_mfma_f32_16x16x16_bf16 v[36:39], a[50:51], a[10:11], v[36:39]// 000000003F58: D3E10024 1C921532
	s_add_u32 m0, 0x500, s46                                   // 000000003F60: 807C2EFF 00000500
	buffer_load_dword v21, s[4:7], 0 offen lds                 // 000000003F68: E0511000 80010015
	v_mfma_f32_16x16x16_bf16 v[36:39], a[52:53], a[12:13], v[36:39]// 000000003F70: D3E10024 1C921934
	s_add_u32 s31, 0x100, s33                                  // 000000003F78: 801F21FF 00000100
	s_cmp_lt_u32 s31, s34                                      // 000000003F80: BF0A221F
	s_cselect_b32 s44, s44, 0                                  // 000000003F84: 852C802C
	s_add_u32 m0, 0, s49                                       // 000000003F88: 807C3180
	buffer_load_dword v23, s[8:11], 0 offen lds                // 000000003F8C: E0511000 80020017
	s_add_u32 s4, s44, s4                                      // 000000003F94: 8004042C
	s_addc_u32 s5, 0, s5                                       // 000000003F98: 82050580
	ds_read_b128 a[56:59], v31 offset:27136                    // 000000003F9C: DBFE6A00 3800001F
	ds_read_b128 a[60:63], v31 offset:27200                    // 000000003FA4: DBFE6A40 3C00001F
	v_mfma_f32_16x16x16_bf16 v[36:39], a[54:55], a[14:15], v[36:39]// 000000003FAC: D3E10024 1C921D36
	s_add_u32 m0, 0x100, s49                                   // 000000003FB4: 807C31FF 00000100
	buffer_load_dword v24, s[8:11], 0 offen lds                // 000000003FBC: E0511000 80020018
	v_mfma_f32_16x16x16_bf16 v[40:43], a[48:49], a[16:17], v[40:43]// 000000003FC4: D3E10028 1CA22130
	s_add_u32 m0, 0x200, s49                                   // 000000003FCC: 807C31FF 00000200
	buffer_load_dword v25, s[8:11], 0 offen lds                // 000000003FD4: E0511000 80020019
	v_mfma_f32_16x16x16_bf16 v[40:43], a[50:51], a[18:19], v[40:43]// 000000003FDC: D3E10028 1CA22532
	s_add_u32 m0, 0x300, s49                                   // 000000003FE4: 807C31FF 00000300
	buffer_load_dword v26, s[8:11], 0 offen lds                // 000000003FEC: E0511000 8002001A
	v_mfma_f32_16x16x16_bf16 v[40:43], a[52:53], a[20:21], v[40:43]// 000000003FF4: D3E10028 1CA22934
	s_add_u32 m0, 0x400, s49                                   // 000000003FFC: 807C31FF 00000400
	buffer_load_dword v27, s[8:11], 0 offen lds                // 000000004004: E0511000 8002001B
	v_mfma_f32_16x16x16_bf16 v[40:43], a[54:55], a[22:23], v[40:43]// 00000000400C: D3E10028 1CA22D36
	s_add_u32 m0, 0x500, s49                                   // 000000004014: 807C31FF 00000500
	buffer_load_dword v28, s[8:11], 0 offen lds                // 00000000401C: E0511000 8002001C
	s_add_u32 m0, 0x600, s49                                   // 000000004024: 807C31FF 00000600
	buffer_load_dword v29, s[8:11], 0 offen lds                // 00000000402C: E0511000 8002001D
	s_add_u32 m0, 0x700, s49                                   // 000000004034: 807C31FF 00000700
	buffer_load_dword v30, s[8:11], 0 offen lds                // 00000000403C: E0511000 8002001E
	s_add_u32 s31, 0x100, s33                                  // 000000004044: 801F21FF 00000100
	s_cmp_lt_u32 s31, s34                                      // 00000000404C: BF0A221F
	s_cselect_b32 s45, s45, 0                                  // 000000004050: 852D802D
	s_add_u32 s8, s45, s8                                      // 000000004054: 8008082D
	s_addc_u32 s9, 0, s9                                       // 000000004058: 82090980
	s_addk_i32 s33, 0x40                                       // 00000000405C: B7210040
	s_cmp_lt_i32 s33, s34                                      // 000000004060: BF042221
	s_cbranch_scc0 label_07C6                                  // 000000004064: BF84022C
	s_waitcnt vmcnt(14) lgkmcnt(0)                             // 000000004068: BF8C007E
	s_barrier                                                  // 00000000406C: BF8A0000
	v_mfma_f32_16x16x16_bf16 v[32:35], a[56:57], a[24:25], v[32:35]// 000000004070: D3E10020 1C823138
	s_add_u32 m0, 0, s47                                       // 000000004078: 807C2F80
	buffer_load_dword v16, s[4:7], 0 offen lds                 // 00000000407C: E0511000 80010010
	ds_read_b128 a[0:3], v22 offset:12544                      // 000000004084: DBFE3100 00000016
	ds_read_b128 a[4:7], v22 offset:12608                      // 00000000408C: DBFE3140 04000016
	v_mfma_f32_16x16x16_bf16 v[32:35], a[58:59], a[26:27], v[32:35]// 000000004094: D3E10020 1C82353A
	s_add_u32 m0, 0x100, s47                                   // 00000000409C: 807C2FFF 00000100
	buffer_load_dword v17, s[4:7], 0 offen lds                 // 0000000040A4: E0511000 80010011
	v_mfma_f32_16x16x16_bf16 v[32:35], a[60:61], a[28:29], v[32:35]// 0000000040AC: D3E10020 1C82393C
	s_add_u32 m0, 0x200, s47                                   // 0000000040B4: 807C2FFF 00000200
	buffer_load_dword v18, s[4:7], 0 offen lds                 // 0000000040BC: E0511000 80010012
	ds_read_b128 a[8:11], v22 offset:13056                     // 0000000040C4: DBFE3300 08000016
	ds_read_b128 a[12:15], v22 offset:13120                    // 0000000040CC: DBFE3340 0C000016
	v_mfma_f32_16x16x16_bf16 v[32:35], a[62:63], a[30:31], v[32:35]// 0000000040D4: D3E10020 1C823D3E
	s_add_u32 m0, 0x300, s47                                   // 0000000040DC: 807C2FFF 00000300
	buffer_load_dword v19, s[4:7], 0 offen lds                 // 0000000040E4: E0511000 80010013
	v_mfma_f32_16x16x16_bf16 v[36:39], a[56:57], a[32:33], v[36:39]// 0000000040EC: D3E10024 1C924138
	s_add_u32 m0, 0x400, s47                                   // 0000000040F4: 807C2FFF 00000400
	buffer_load_dword v20, s[4:7], 0 offen lds                 // 0000000040FC: E0511000 80010014
	ds_read_b128 a[16:19], v22 offset:13568                    // 000000004104: DBFE3500 10000016
	ds_read_b128 a[20:23], v22 offset:13632                    // 00000000410C: DBFE3540 14000016
	v_mfma_f32_16x16x16_bf16 v[36:39], a[58:59], a[34:35], v[36:39]// 000000004114: D3E10024 1C92453A
	s_add_u32 m0, 0x500, s47                                   // 00000000411C: 807C2FFF 00000500
	buffer_load_dword v21, s[4:7], 0 offen lds                 // 000000004124: E0511000 80010015
	v_mfma_f32_16x16x16_bf16 v[36:39], a[60:61], a[36:37], v[36:39]// 00000000412C: D3E10024 1C92493C
	s_add_u32 s31, 0x100, s33                                  // 000000004134: 801F21FF 00000100
	s_cmp_lt_u32 s31, s34                                      // 00000000413C: BF0A221F
	s_cselect_b32 s44, s44, 0                                  // 000000004140: 852C802C
	s_add_u32 m0, 0, s50                                       // 000000004144: 807C3280
	buffer_load_dword v23, s[8:11], 0 offen lds                // 000000004148: E0511000 80020017
	s_add_u32 s4, s44, s4                                      // 000000004150: 8004042C
	s_addc_u32 s5, 0, s5                                       // 000000004154: 82050580
	ds_read_b128 a[48:51], v31 offset:35456                    // 000000004158: DBFE8A80 3000001F
	ds_read_b128 a[52:55], v31 offset:35520                    // 000000004160: DBFE8AC0 3400001F
	v_mfma_f32_16x16x16_bf16 v[36:39], a[62:63], a[38:39], v[36:39]// 000000004168: D3E10024 1C924D3E
	s_add_u32 m0, 0x100, s50                                   // 000000004170: 807C32FF 00000100
	buffer_load_dword v24, s[8:11], 0 offen lds                // 000000004178: E0511000 80020018
	v_mfma_f32_16x16x16_bf16 v[40:43], a[56:57], a[40:41], v[40:43]// 000000004180: D3E10028 1CA25138
	s_add_u32 m0, 0x200, s50                                   // 000000004188: 807C32FF 00000200
	buffer_load_dword v25, s[8:11], 0 offen lds                // 000000004190: E0511000 80020019
	v_mfma_f32_16x16x16_bf16 v[40:43], a[58:59], a[42:43], v[40:43]// 000000004198: D3E10028 1CA2553A
	s_add_u32 m0, 0x300, s50                                   // 0000000041A0: 807C32FF 00000300
	buffer_load_dword v26, s[8:11], 0 offen lds                // 0000000041A8: E0511000 8002001A
	v_mfma_f32_16x16x16_bf16 v[40:43], a[60:61], a[44:45], v[40:43]// 0000000041B0: D3E10028 1CA2593C
	s_add_u32 m0, 0x400, s50                                   // 0000000041B8: 807C32FF 00000400
	buffer_load_dword v27, s[8:11], 0 offen lds                // 0000000041C0: E0511000 8002001B
	v_mfma_f32_16x16x16_bf16 v[40:43], a[62:63], a[46:47], v[40:43]// 0000000041C8: D3E10028 1CA25D3E
	s_add_u32 m0, 0x500, s50                                   // 0000000041D0: 807C32FF 00000500
	buffer_load_dword v28, s[8:11], 0 offen lds                // 0000000041D8: E0511000 8002001C
	s_add_u32 m0, 0x600, s50                                   // 0000000041E0: 807C32FF 00000600
	buffer_load_dword v29, s[8:11], 0 offen lds                // 0000000041E8: E0511000 8002001D
	s_add_u32 m0, 0x700, s50                                   // 0000000041F0: 807C32FF 00000700
	buffer_load_dword v30, s[8:11], 0 offen lds                // 0000000041F8: E0511000 8002001E
	s_add_u32 s31, 0x100, s33                                  // 000000004200: 801F21FF 00000100
	s_cmp_lt_u32 s31, s34                                      // 000000004208: BF0A221F
	s_cselect_b32 s45, s45, 0                                  // 00000000420C: 852D802D
	s_add_u32 s8, s45, s8                                      // 000000004210: 8008082D
	s_addc_u32 s9, 0, s9                                       // 000000004214: 82090980
	s_addk_i32 s33, 0x40                                       // 000000004218: B7210040
	s_cmp_lt_i32 s33, s34                                      // 00000000421C: BF042221
	s_cbranch_scc0 label_07C6                                  // 000000004220: BF8401BD
	s_waitcnt vmcnt(14) lgkmcnt(0)                             // 000000004224: BF8C007E
	s_barrier                                                  // 000000004228: BF8A0000
	v_mfma_f32_16x16x16_bf16 v[32:35], a[48:49], a[0:1], v[32:35]// 00000000422C: D3E10020 1C820130
	s_add_u32 m0, 0, s48                                       // 000000004234: 807C3080
	buffer_load_dword v16, s[4:7], 0 offen lds                 // 000000004238: E0511000 80010010
	ds_read_b128 a[24:27], v22                                 // 000000004240: DBFE0000 18000016
	ds_read_b128 a[28:31], v22 offset:64                       // 000000004248: DBFE0040 1C000016
	v_mfma_f32_16x16x16_bf16 v[32:35], a[50:51], a[2:3], v[32:35]// 000000004250: D3E10020 1C820532
	s_add_u32 m0, 0x100, s48                                   // 000000004258: 807C30FF 00000100
	buffer_load_dword v17, s[4:7], 0 offen lds                 // 000000004260: E0511000 80010011
	v_mfma_f32_16x16x16_bf16 v[32:35], a[52:53], a[4:5], v[32:35]// 000000004268: D3E10020 1C820934
	s_add_u32 m0, 0x200, s48                                   // 000000004270: 807C30FF 00000200
	buffer_load_dword v18, s[4:7], 0 offen lds                 // 000000004278: E0511000 80010012
	ds_read_b128 a[32:35], v22 offset:512                      // 000000004280: DBFE0200 20000016
	ds_read_b128 a[36:39], v22 offset:576                      // 000000004288: DBFE0240 24000016
	v_mfma_f32_16x16x16_bf16 v[32:35], a[54:55], a[6:7], v[32:35]// 000000004290: D3E10020 1C820D36
	s_add_u32 m0, 0x300, s48                                   // 000000004298: 807C30FF 00000300
	buffer_load_dword v19, s[4:7], 0 offen lds                 // 0000000042A0: E0511000 80010013
	v_mfma_f32_16x16x16_bf16 v[36:39], a[48:49], a[8:9], v[36:39]// 0000000042A8: D3E10024 1C921130
	s_add_u32 m0, 0x400, s48                                   // 0000000042B0: 807C30FF 00000400
	buffer_load_dword v20, s[4:7], 0 offen lds                 // 0000000042B8: E0511000 80010014
	ds_read_b128 a[40:43], v22 offset:1024                     // 0000000042C0: DBFE0400 28000016
	ds_read_b128 a[44:47], v22 offset:1088                     // 0000000042C8: DBFE0440 2C000016
	v_mfma_f32_16x16x16_bf16 v[36:39], a[50:51], a[10:11], v[36:39]// 0000000042D0: D3E10024 1C921532
	s_add_u32 m0, 0x500, s48                                   // 0000000042D8: 807C30FF 00000500
	buffer_load_dword v21, s[4:7], 0 offen lds                 // 0000000042E0: E0511000 80010015
	v_mfma_f32_16x16x16_bf16 v[36:39], a[52:53], a[12:13], v[36:39]// 0000000042E8: D3E10024 1C921934
	s_add_u32 s31, 0x100, s33                                  // 0000000042F0: 801F21FF 00000100
	s_cmp_lt_u32 s31, s34                                      // 0000000042F8: BF0A221F
	s_cselect_b32 s44, s44, 0                                  // 0000000042FC: 852C802C
	s_add_u32 m0, 0, s51                                       // 000000004300: 807C3380
	buffer_load_dword v23, s[8:11], 0 offen lds                // 000000004304: E0511000 80020017
	s_add_u32 s4, s44, s4                                      // 00000000430C: 8004042C
	s_addc_u32 s5, 0, s5                                       // 000000004310: 82050580
	ds_read_b128 a[56:59], v31 offset:18816                    // 000000004314: DBFE4980 3800001F
	ds_read_b128 a[60:63], v31 offset:18880                    // 00000000431C: DBFE49C0 3C00001F
	v_mfma_f32_16x16x16_bf16 v[36:39], a[54:55], a[14:15], v[36:39]// 000000004324: D3E10024 1C921D36
	s_add_u32 m0, 0x100, s51                                   // 00000000432C: 807C33FF 00000100
	buffer_load_dword v24, s[8:11], 0 offen lds                // 000000004334: E0511000 80020018
	v_mfma_f32_16x16x16_bf16 v[40:43], a[48:49], a[16:17], v[40:43]// 00000000433C: D3E10028 1CA22130
	s_add_u32 m0, 0x200, s51                                   // 000000004344: 807C33FF 00000200
	buffer_load_dword v25, s[8:11], 0 offen lds                // 00000000434C: E0511000 80020019
	v_mfma_f32_16x16x16_bf16 v[40:43], a[50:51], a[18:19], v[40:43]// 000000004354: D3E10028 1CA22532
	s_add_u32 m0, 0x300, s51                                   // 00000000435C: 807C33FF 00000300
	buffer_load_dword v26, s[8:11], 0 offen lds                // 000000004364: E0511000 8002001A
	v_mfma_f32_16x16x16_bf16 v[40:43], a[52:53], a[20:21], v[40:43]// 00000000436C: D3E10028 1CA22934
	s_add_u32 m0, 0x400, s51                                   // 000000004374: 807C33FF 00000400
	buffer_load_dword v27, s[8:11], 0 offen lds                // 00000000437C: E0511000 8002001B
	v_mfma_f32_16x16x16_bf16 v[40:43], a[54:55], a[22:23], v[40:43]// 000000004384: D3E10028 1CA22D36
	s_add_u32 m0, 0x500, s51                                   // 00000000438C: 807C33FF 00000500
	buffer_load_dword v28, s[8:11], 0 offen lds                // 000000004394: E0511000 8002001C
	s_add_u32 m0, 0x600, s51                                   // 00000000439C: 807C33FF 00000600
	buffer_load_dword v29, s[8:11], 0 offen lds                // 0000000043A4: E0511000 8002001D
	s_add_u32 m0, 0x700, s51                                   // 0000000043AC: 807C33FF 00000700
	buffer_load_dword v30, s[8:11], 0 offen lds                // 0000000043B4: E0511000 8002001E
	s_add_u32 s31, 0x100, s33                                  // 0000000043BC: 801F21FF 00000100
	s_cmp_lt_u32 s31, s34                                      // 0000000043C4: BF0A221F
	s_cselect_b32 s45, s45, 0                                  // 0000000043C8: 852D802D
	s_add_u32 s8, s45, s8                                      // 0000000043CC: 8008082D
	s_addc_u32 s9, 0, s9                                       // 0000000043D0: 82090980
	s_addk_i32 s33, 0x40                                       // 0000000043D4: B7210040
	s_cmp_lt_i32 s33, s34                                      // 0000000043D8: BF042221
	s_cbranch_scc0 label_07C6                                  // 0000000043DC: BF84014E
	s_waitcnt vmcnt(14) lgkmcnt(0)                             // 0000000043E0: BF8C007E
	s_barrier                                                  // 0000000043E4: BF8A0000
	v_mfma_f32_16x16x16_bf16 v[32:35], a[56:57], a[24:25], v[32:35]// 0000000043E8: D3E10020 1C823138
	s_add_u32 m0, 0, s46                                       // 0000000043F0: 807C2E80
	buffer_load_dword v16, s[4:7], 0 offen lds                 // 0000000043F4: E0511000 80010010
	ds_read_b128 a[0:3], v22 offset:6272                       // 0000000043FC: DBFE1880 00000016
	ds_read_b128 a[4:7], v22 offset:6336                       // 000000004404: DBFE18C0 04000016
	v_mfma_f32_16x16x16_bf16 v[32:35], a[58:59], a[26:27], v[32:35]// 00000000440C: D3E10020 1C82353A
	s_add_u32 m0, 0x100, s46                                   // 000000004414: 807C2EFF 00000100
	buffer_load_dword v17, s[4:7], 0 offen lds                 // 00000000441C: E0511000 80010011
	v_mfma_f32_16x16x16_bf16 v[32:35], a[60:61], a[28:29], v[32:35]// 000000004424: D3E10020 1C82393C
	s_add_u32 m0, 0x200, s46                                   // 00000000442C: 807C2EFF 00000200
	buffer_load_dword v18, s[4:7], 0 offen lds                 // 000000004434: E0511000 80010012
	ds_read_b128 a[8:11], v22 offset:6784                      // 00000000443C: DBFE1A80 08000016
	ds_read_b128 a[12:15], v22 offset:6848                     // 000000004444: DBFE1AC0 0C000016
	v_mfma_f32_16x16x16_bf16 v[32:35], a[62:63], a[30:31], v[32:35]// 00000000444C: D3E10020 1C823D3E
	s_add_u32 m0, 0x300, s46                                   // 000000004454: 807C2EFF 00000300
	buffer_load_dword v19, s[4:7], 0 offen lds                 // 00000000445C: E0511000 80010013
	v_mfma_f32_16x16x16_bf16 v[36:39], a[56:57], a[32:33], v[36:39]// 000000004464: D3E10024 1C924138
	s_add_u32 m0, 0x400, s46                                   // 00000000446C: 807C2EFF 00000400
	buffer_load_dword v20, s[4:7], 0 offen lds                 // 000000004474: E0511000 80010014
	ds_read_b128 a[16:19], v22 offset:7296                     // 00000000447C: DBFE1C80 10000016
	ds_read_b128 a[20:23], v22 offset:7360                     // 000000004484: DBFE1CC0 14000016
	v_mfma_f32_16x16x16_bf16 v[36:39], a[58:59], a[34:35], v[36:39]// 00000000448C: D3E10024 1C92453A
	s_add_u32 m0, 0x500, s46                                   // 000000004494: 807C2EFF 00000500
	buffer_load_dword v21, s[4:7], 0 offen lds                 // 00000000449C: E0511000 80010015
	v_mfma_f32_16x16x16_bf16 v[36:39], a[60:61], a[36:37], v[36:39]// 0000000044A4: D3E10024 1C92493C
	s_add_u32 s31, 0x100, s33                                  // 0000000044AC: 801F21FF 00000100
	s_cmp_lt_u32 s31, s34                                      // 0000000044B4: BF0A221F
	s_cselect_b32 s44, s44, 0                                  // 0000000044B8: 852C802C
	s_add_u32 m0, 0, s49                                       // 0000000044BC: 807C3180
	buffer_load_dword v23, s[8:11], 0 offen lds                // 0000000044C0: E0511000 80020017
	s_add_u32 s4, s44, s4                                      // 0000000044C8: 8004042C
	s_addc_u32 s5, 0, s5                                       // 0000000044CC: 82050580
	ds_read_b128 a[48:51], v31 offset:27136                    // 0000000044D0: DBFE6A00 3000001F
	ds_read_b128 a[52:55], v31 offset:27200                    // 0000000044D8: DBFE6A40 3400001F
	v_mfma_f32_16x16x16_bf16 v[36:39], a[62:63], a[38:39], v[36:39]// 0000000044E0: D3E10024 1C924D3E
	s_add_u32 m0, 0x100, s49                                   // 0000000044E8: 807C31FF 00000100
	buffer_load_dword v24, s[8:11], 0 offen lds                // 0000000044F0: E0511000 80020018
	v_mfma_f32_16x16x16_bf16 v[40:43], a[56:57], a[40:41], v[40:43]// 0000000044F8: D3E10028 1CA25138
	s_add_u32 m0, 0x200, s49                                   // 000000004500: 807C31FF 00000200
	buffer_load_dword v25, s[8:11], 0 offen lds                // 000000004508: E0511000 80020019
	v_mfma_f32_16x16x16_bf16 v[40:43], a[58:59], a[42:43], v[40:43]// 000000004510: D3E10028 1CA2553A
	s_add_u32 m0, 0x300, s49                                   // 000000004518: 807C31FF 00000300
	buffer_load_dword v26, s[8:11], 0 offen lds                // 000000004520: E0511000 8002001A
	v_mfma_f32_16x16x16_bf16 v[40:43], a[60:61], a[44:45], v[40:43]// 000000004528: D3E10028 1CA2593C
	s_add_u32 m0, 0x400, s49                                   // 000000004530: 807C31FF 00000400
	buffer_load_dword v27, s[8:11], 0 offen lds                // 000000004538: E0511000 8002001B
	v_mfma_f32_16x16x16_bf16 v[40:43], a[62:63], a[46:47], v[40:43]// 000000004540: D3E10028 1CA25D3E
	s_add_u32 m0, 0x500, s49                                   // 000000004548: 807C31FF 00000500
	buffer_load_dword v28, s[8:11], 0 offen lds                // 000000004550: E0511000 8002001C
	s_add_u32 m0, 0x600, s49                                   // 000000004558: 807C31FF 00000600
	buffer_load_dword v29, s[8:11], 0 offen lds                // 000000004560: E0511000 8002001D
	s_add_u32 m0, 0x700, s49                                   // 000000004568: 807C31FF 00000700
	buffer_load_dword v30, s[8:11], 0 offen lds                // 000000004570: E0511000 8002001E
	s_add_u32 s31, 0x100, s33                                  // 000000004578: 801F21FF 00000100
	s_cmp_lt_u32 s31, s34                                      // 000000004580: BF0A221F
	s_cselect_b32 s45, s45, 0                                  // 000000004584: 852D802D
	s_add_u32 s8, s45, s8                                      // 000000004588: 8008082D
	s_addc_u32 s9, 0, s9                                       // 00000000458C: 82090980
	s_addk_i32 s33, 0x40                                       // 000000004590: B7210040
	s_cmp_lt_i32 s33, s34                                      // 000000004594: BF042221
	s_cbranch_scc0 label_07C6                                  // 000000004598: BF8400DF
	s_waitcnt vmcnt(14) lgkmcnt(0)                             // 00000000459C: BF8C007E
	s_barrier                                                  // 0000000045A0: BF8A0000
	v_mfma_f32_16x16x16_bf16 v[32:35], a[48:49], a[0:1], v[32:35]// 0000000045A4: D3E10020 1C820130
	s_add_u32 m0, 0, s47                                       // 0000000045AC: 807C2F80
	buffer_load_dword v16, s[4:7], 0 offen lds                 // 0000000045B0: E0511000 80010010
	ds_read_b128 a[24:27], v22 offset:12544                    // 0000000045B8: DBFE3100 18000016
	ds_read_b128 a[28:31], v22 offset:12608                    // 0000000045C0: DBFE3140 1C000016
	v_mfma_f32_16x16x16_bf16 v[32:35], a[50:51], a[2:3], v[32:35]// 0000000045C8: D3E10020 1C820532
	s_add_u32 m0, 0x100, s47                                   // 0000000045D0: 807C2FFF 00000100
	buffer_load_dword v17, s[4:7], 0 offen lds                 // 0000000045D8: E0511000 80010011
	v_mfma_f32_16x16x16_bf16 v[32:35], a[52:53], a[4:5], v[32:35]// 0000000045E0: D3E10020 1C820934
	s_add_u32 m0, 0x200, s47                                   // 0000000045E8: 807C2FFF 00000200
	buffer_load_dword v18, s[4:7], 0 offen lds                 // 0000000045F0: E0511000 80010012
	ds_read_b128 a[32:35], v22 offset:13056                    // 0000000045F8: DBFE3300 20000016
	ds_read_b128 a[36:39], v22 offset:13120                    // 000000004600: DBFE3340 24000016
	v_mfma_f32_16x16x16_bf16 v[32:35], a[54:55], a[6:7], v[32:35]// 000000004608: D3E10020 1C820D36
	s_add_u32 m0, 0x300, s47                                   // 000000004610: 807C2FFF 00000300
	buffer_load_dword v19, s[4:7], 0 offen lds                 // 000000004618: E0511000 80010013
	v_mfma_f32_16x16x16_bf16 v[36:39], a[48:49], a[8:9], v[36:39]// 000000004620: D3E10024 1C921130
	s_add_u32 m0, 0x400, s47                                   // 000000004628: 807C2FFF 00000400
	buffer_load_dword v20, s[4:7], 0 offen lds                 // 000000004630: E0511000 80010014
	ds_read_b128 a[40:43], v22 offset:13568                    // 000000004638: DBFE3500 28000016
	ds_read_b128 a[44:47], v22 offset:13632                    // 000000004640: DBFE3540 2C000016
	v_mfma_f32_16x16x16_bf16 v[36:39], a[50:51], a[10:11], v[36:39]// 000000004648: D3E10024 1C921532
	s_add_u32 m0, 0x500, s47                                   // 000000004650: 807C2FFF 00000500
	buffer_load_dword v21, s[4:7], 0 offen lds                 // 000000004658: E0511000 80010015
	v_mfma_f32_16x16x16_bf16 v[36:39], a[52:53], a[12:13], v[36:39]// 000000004660: D3E10024 1C921934
	s_add_u32 s31, 0x100, s33                                  // 000000004668: 801F21FF 00000100
	s_cmp_lt_u32 s31, s34                                      // 000000004670: BF0A221F
	s_cselect_b32 s44, s44, 0                                  // 000000004674: 852C802C
	s_add_u32 m0, 0, s50                                       // 000000004678: 807C3280
	buffer_load_dword v23, s[8:11], 0 offen lds                // 00000000467C: E0511000 80020017
	s_add_u32 s4, s44, s4                                      // 000000004684: 8004042C
	s_addc_u32 s5, 0, s5                                       // 000000004688: 82050580
	ds_read_b128 a[56:59], v31 offset:35456                    // 00000000468C: DBFE8A80 3800001F
	ds_read_b128 a[60:63], v31 offset:35520                    // 000000004694: DBFE8AC0 3C00001F
	v_mfma_f32_16x16x16_bf16 v[36:39], a[54:55], a[14:15], v[36:39]// 00000000469C: D3E10024 1C921D36
	s_add_u32 m0, 0x100, s50                                   // 0000000046A4: 807C32FF 00000100
	buffer_load_dword v24, s[8:11], 0 offen lds                // 0000000046AC: E0511000 80020018
	v_mfma_f32_16x16x16_bf16 v[40:43], a[48:49], a[16:17], v[40:43]// 0000000046B4: D3E10028 1CA22130
	s_add_u32 m0, 0x200, s50                                   // 0000000046BC: 807C32FF 00000200
	buffer_load_dword v25, s[8:11], 0 offen lds                // 0000000046C4: E0511000 80020019
	v_mfma_f32_16x16x16_bf16 v[40:43], a[50:51], a[18:19], v[40:43]// 0000000046CC: D3E10028 1CA22532
	s_add_u32 m0, 0x300, s50                                   // 0000000046D4: 807C32FF 00000300
	buffer_load_dword v26, s[8:11], 0 offen lds                // 0000000046DC: E0511000 8002001A
	v_mfma_f32_16x16x16_bf16 v[40:43], a[52:53], a[20:21], v[40:43]// 0000000046E4: D3E10028 1CA22934
	s_add_u32 m0, 0x400, s50                                   // 0000000046EC: 807C32FF 00000400
	buffer_load_dword v27, s[8:11], 0 offen lds                // 0000000046F4: E0511000 8002001B
	v_mfma_f32_16x16x16_bf16 v[40:43], a[54:55], a[22:23], v[40:43]// 0000000046FC: D3E10028 1CA22D36
	s_add_u32 m0, 0x500, s50                                   // 000000004704: 807C32FF 00000500
	buffer_load_dword v28, s[8:11], 0 offen lds                // 00000000470C: E0511000 8002001C
	s_add_u32 m0, 0x600, s50                                   // 000000004714: 807C32FF 00000600
	buffer_load_dword v29, s[8:11], 0 offen lds                // 00000000471C: E0511000 8002001D
	s_add_u32 m0, 0x700, s50                                   // 000000004724: 807C32FF 00000700
	buffer_load_dword v30, s[8:11], 0 offen lds                // 00000000472C: E0511000 8002001E
	s_add_u32 s31, 0x100, s33                                  // 000000004734: 801F21FF 00000100
	s_cmp_lt_u32 s31, s34                                      // 00000000473C: BF0A221F
	s_cselect_b32 s45, s45, 0                                  // 000000004740: 852D802D
	s_add_u32 s8, s45, s8                                      // 000000004744: 8008082D
	s_addc_u32 s9, 0, s9                                       // 000000004748: 82090980
	s_addk_i32 s33, 0x40                                       // 00000000474C: B7210040
	s_cmp_lt_i32 s33, s34                                      // 000000004750: BF042221
	s_cbranch_scc0 label_07C6                                  // 000000004754: BF840070
	s_waitcnt vmcnt(14) lgkmcnt(0)                             // 000000004758: BF8C007E
	s_barrier                                                  // 00000000475C: BF8A0000
	v_mfma_f32_16x16x16_bf16 v[32:35], a[56:57], a[24:25], v[32:35]// 000000004760: D3E10020 1C823138
	s_add_u32 m0, 0, s48                                       // 000000004768: 807C3080
	buffer_load_dword v16, s[4:7], 0 offen lds                 // 00000000476C: E0511000 80010010
	ds_read_b128 a[0:3], v22                                   // 000000004774: DBFE0000 00000016
	ds_read_b128 a[4:7], v22 offset:64                         // 00000000477C: DBFE0040 04000016
	v_mfma_f32_16x16x16_bf16 v[32:35], a[58:59], a[26:27], v[32:35]// 000000004784: D3E10020 1C82353A
	s_add_u32 m0, 0x100, s48                                   // 00000000478C: 807C30FF 00000100
	buffer_load_dword v17, s[4:7], 0 offen lds                 // 000000004794: E0511000 80010011
	v_mfma_f32_16x16x16_bf16 v[32:35], a[60:61], a[28:29], v[32:35]// 00000000479C: D3E10020 1C82393C
	s_add_u32 m0, 0x200, s48                                   // 0000000047A4: 807C30FF 00000200
	buffer_load_dword v18, s[4:7], 0 offen lds                 // 0000000047AC: E0511000 80010012
	ds_read_b128 a[8:11], v22 offset:512                       // 0000000047B4: DBFE0200 08000016
	ds_read_b128 a[12:15], v22 offset:576                      // 0000000047BC: DBFE0240 0C000016
	v_mfma_f32_16x16x16_bf16 v[32:35], a[62:63], a[30:31], v[32:35]// 0000000047C4: D3E10020 1C823D3E
	s_add_u32 m0, 0x300, s48                                   // 0000000047CC: 807C30FF 00000300
	buffer_load_dword v19, s[4:7], 0 offen lds                 // 0000000047D4: E0511000 80010013
	v_mfma_f32_16x16x16_bf16 v[36:39], a[56:57], a[32:33], v[36:39]// 0000000047DC: D3E10024 1C924138
	s_add_u32 m0, 0x400, s48                                   // 0000000047E4: 807C30FF 00000400
	buffer_load_dword v20, s[4:7], 0 offen lds                 // 0000000047EC: E0511000 80010014
	ds_read_b128 a[16:19], v22 offset:1024                     // 0000000047F4: DBFE0400 10000016
	ds_read_b128 a[20:23], v22 offset:1088                     // 0000000047FC: DBFE0440 14000016
	v_mfma_f32_16x16x16_bf16 v[36:39], a[58:59], a[34:35], v[36:39]// 000000004804: D3E10024 1C92453A
	s_add_u32 m0, 0x500, s48                                   // 00000000480C: 807C30FF 00000500
	buffer_load_dword v21, s[4:7], 0 offen lds                 // 000000004814: E0511000 80010015
	v_mfma_f32_16x16x16_bf16 v[36:39], a[60:61], a[36:37], v[36:39]// 00000000481C: D3E10024 1C92493C
	s_add_u32 s31, 0x100, s33                                  // 000000004824: 801F21FF 00000100
	s_cmp_lt_u32 s31, s34                                      // 00000000482C: BF0A221F
	s_cselect_b32 s44, s44, 0                                  // 000000004830: 852C802C
	s_add_u32 m0, 0, s51                                       // 000000004834: 807C3380
	buffer_load_dword v23, s[8:11], 0 offen lds                // 000000004838: E0511000 80020017
	s_add_u32 s4, s44, s4                                      // 000000004840: 8004042C
	s_addc_u32 s5, 0, s5                                       // 000000004844: 82050580
	ds_read_b128 a[48:51], v31 offset:18816                    // 000000004848: DBFE4980 3000001F
	ds_read_b128 a[52:55], v31 offset:18880                    // 000000004850: DBFE49C0 3400001F
	v_mfma_f32_16x16x16_bf16 v[36:39], a[62:63], a[38:39], v[36:39]// 000000004858: D3E10024 1C924D3E
	s_add_u32 m0, 0x100, s51                                   // 000000004860: 807C33FF 00000100
	buffer_load_dword v24, s[8:11], 0 offen lds                // 000000004868: E0511000 80020018
	v_mfma_f32_16x16x16_bf16 v[40:43], a[56:57], a[40:41], v[40:43]// 000000004870: D3E10028 1CA25138
	s_add_u32 m0, 0x200, s51                                   // 000000004878: 807C33FF 00000200
	buffer_load_dword v25, s[8:11], 0 offen lds                // 000000004880: E0511000 80020019
	v_mfma_f32_16x16x16_bf16 v[40:43], a[58:59], a[42:43], v[40:43]// 000000004888: D3E10028 1CA2553A
	s_add_u32 m0, 0x300, s51                                   // 000000004890: 807C33FF 00000300
	buffer_load_dword v26, s[8:11], 0 offen lds                // 000000004898: E0511000 8002001A
	v_mfma_f32_16x16x16_bf16 v[40:43], a[60:61], a[44:45], v[40:43]// 0000000048A0: D3E10028 1CA2593C
	s_add_u32 m0, 0x400, s51                                   // 0000000048A8: 807C33FF 00000400
	buffer_load_dword v27, s[8:11], 0 offen lds                // 0000000048B0: E0511000 8002001B
	v_mfma_f32_16x16x16_bf16 v[40:43], a[62:63], a[46:47], v[40:43]// 0000000048B8: D3E10028 1CA25D3E
	s_add_u32 m0, 0x500, s51                                   // 0000000048C0: 807C33FF 00000500
	buffer_load_dword v28, s[8:11], 0 offen lds                // 0000000048C8: E0511000 8002001C
	s_add_u32 m0, 0x600, s51                                   // 0000000048D0: 807C33FF 00000600
	buffer_load_dword v29, s[8:11], 0 offen lds                // 0000000048D8: E0511000 8002001D
	s_add_u32 m0, 0x700, s51                                   // 0000000048E0: 807C33FF 00000700
	buffer_load_dword v30, s[8:11], 0 offen lds                // 0000000048E8: E0511000 8002001E
	s_add_u32 s31, 0x100, s33                                  // 0000000048F0: 801F21FF 00000100
	s_cmp_lt_u32 s31, s34                                      // 0000000048F8: BF0A221F
	s_cselect_b32 s45, s45, 0                                  // 0000000048FC: 852D802D
	s_add_u32 s8, s45, s8                                      // 000000004900: 8008082D
	s_addc_u32 s9, 0, s9                                       // 000000004904: 82090980
	s_addk_i32 s33, 0x40                                       // 000000004908: B7210040
	s_cmp_lt_i32 s33, s34                                      // 00000000490C: BF042221
	s_cbranch_scc0 label_07C6                                  // 000000004910: BF840001
	s_branch label_052B                                        // 000000004914: BF82FD65

0000000000004918 <label_07C6>:
	s_cmp_le_u32 s52, 1                                        // 000000004918: BF0B8134
	s_cbranch_scc1 label_0AAB                                  // 00000000491C: BF8502E3
	s_mov_b32 s31, 48                                          // 000000004920: BE9F00B0
	s_cmp_lt_u32 s55, s31                                      // 000000004924: BF0A1F37
	s_cbranch_scc1 label_08F0                                  // 000000004928: BF850125
	v_mov_b32_e32 v5, 0                                        // 00000000492C: 7E0A0280
	s_and_b32 s17, s17, 0xffff                                 // 000000004930: 8611FF11 0000FFFF
	s_cmp_lt_u32 s54, 1                                        // 000000004938: BF0A8136
	s_cbranch_scc0 label_0847                                  // 00000000493C: BF840077
	v_lshrrev_b32_e32 v4, 4, v0                                // 000000004940: 20080084
	v_mul_u32_u24_e32 v22, 0x44, v4                            // 000000004944: 102C08FF 00000044
	v_and_b32_e32 v4, 15, v0                                   // 00000000494C: 2608008F
	v_mul_lo_u32 v5, 4, v4                                     // 000000004950: D2850005 00020884
	v_add_u32_e32 v22, v5, v22                                 // 000000004958: 682C2D05
	s_mul_i32 s31, s24, 0x110                                  // 00000000495C: 921FFF18 00000110
	v_add_u32_e32 v22, s31, v22                                // 000000004964: 682C2C1F
	v_lshlrev_b32_e32 v22, 2, v22                              // 000000004968: 242C2C82
	v_lshrrev_b32_e32 v4, 2, v0                                // 00000000496C: 20080082
	v_mul_u32_u24_e32 v31, 0x44, v4                            // 000000004970: 103E08FF 00000044
	v_and_b32_e32 v4, 3, v0                                    // 000000004978: 26080083
	v_add_u32_e32 v31, v4, v31                                 // 00000000497C: 683E3F04
	s_mul_i32 s31, s24, 4                                      // 000000004980: 921F8418
	v_add_u32_e32 v31, s31, v31                                // 000000004984: 683E3E1F
	v_lshlrev_b32_e32 v31, 2, v31                              // 000000004988: 243E3E82
	s_waitcnt vmcnt(0) expcnt(0) lgkmcnt(0)                    // 00000000498C: BF8C0000
	s_barrier                                                  // 000000004990: BF8A0000
	ds_write_b128 v22, v[32:35]                                // 000000004994: D9BE0000 00002016
	ds_write_b128 v22, v[36:39] offset:4352                    // 00000000499C: D9BE1100 00002416
	ds_write_b128 v22, v[40:43] offset:8704                    // 0000000049A4: D9BE2200 00002816
	s_waitcnt lgkmcnt(0)                                       // 0000000049AC: BF8CC07F
	s_barrier                                                  // 0000000049B0: BF8A0000
	ds_read_b32 v32, v31                                       // 0000000049B4: D86C0000 2000001F
	ds_read_b32 v33, v31 offset:64                             // 0000000049BC: D86C0040 2100001F
	ds_read_b32 v34, v31 offset:128                            // 0000000049C4: D86C0080 2200001F
	ds_read_b32 v35, v31 offset:192                            // 0000000049CC: D86C00C0 2300001F
	ds_read_b32 v36, v31 offset:4352                           // 0000000049D4: D86C1100 2400001F
	ds_read_b32 v37, v31 offset:4416                           // 0000000049DC: D86C1140 2500001F
	ds_read_b32 v38, v31 offset:4480                           // 0000000049E4: D86C1180 2600001F
	ds_read_b32 v39, v31 offset:4544                           // 0000000049EC: D86C11C0 2700001F
	ds_read_b32 v40, v31 offset:8704                           // 0000000049F4: D86C2200 2800001F
	ds_read_b32 v41, v31 offset:8768                           // 0000000049FC: D86C2240 2900001F
	ds_read_b32 v42, v31 offset:8832                           // 000000004A04: D86C2280 2A00001F
	ds_read_b32 v43, v31 offset:8896                           // 000000004A0C: D86C22C0 2B00001F
	s_waitcnt lgkmcnt(0)                                       // 000000004A14: BF8CC07F
	s_cmp_eq_u32 s24, 0                                        // 000000004A18: BF068018
	s_cbranch_scc0 label_080E                                  // 000000004A1C: BF840006
	s_mov_b32 s31, 0                                           // 000000004A20: BE9F0080

0000000000004a24 <label_0809>:
	s_load_dword s32, s[40:41], s62 glc                        // 000000004A24: C0010814 0000003E
	s_waitcnt lgkmcnt(0)                                       // 000000004A2C: BF8CC07F
	s_cmp_gt_u32 s32, s31                                      // 000000004A30: BF081F20
	s_cbranch_scc0 label_0809                                  // 000000004A34: BF84FFFB

0000000000004a38 <label_080E>:
	s_barrier                                                  // 000000004A38: BF8A0000
	s_mul_i32 s31, s30, 4                                      // 000000004A3C: 921F841E
	v_mov_b32_e32 v4, v15                                      // 000000004A40: 7E08030F
	global_atomic_add_f32 v4, v32, s[16:17]                    // 000000004A44: DD348000 00102004
	v_add_u32_e64 v4, v4, s31                                  // 000000004A4C: D1340004 00003F04
	global_atomic_add_f32 v4, v33, s[16:17]                    // 000000004A54: DD348000 00102104
	v_add_u32_e64 v4, v4, s31                                  // 000000004A5C: D1340004 00003F04
	global_atomic_add_f32 v4, v34, s[16:17]                    // 000000004A64: DD348000 00102204
	v_add_u32_e64 v4, v4, s31                                  // 000000004A6C: D1340004 00003F04
	global_atomic_add_f32 v4, v35, s[16:17]                    // 000000004A74: DD348000 00102304
	v_add_u32_e64 v4, v4, s31                                  // 000000004A7C: D1340004 00003F04
	global_atomic_add_f32 v4, v36, s[16:17]                    // 000000004A84: DD348000 00102404
	v_add_u32_e64 v4, v4, s31                                  // 000000004A8C: D1340004 00003F04
	global_atomic_add_f32 v4, v37, s[16:17]                    // 000000004A94: DD348000 00102504
	v_add_u32_e64 v4, v4, s31                                  // 000000004A9C: D1340004 00003F04
	global_atomic_add_f32 v4, v38, s[16:17]                    // 000000004AA4: DD348000 00102604
	v_add_u32_e64 v4, v4, s31                                  // 000000004AAC: D1340004 00003F04
	global_atomic_add_f32 v4, v39, s[16:17]                    // 000000004AB4: DD348000 00102704
	v_add_u32_e64 v4, v4, s31                                  // 000000004ABC: D1340004 00003F04
	global_atomic_add_f32 v4, v40, s[16:17]                    // 000000004AC4: DD348000 00102804
	v_add_u32_e64 v4, v4, s31                                  // 000000004ACC: D1340004 00003F04
	global_atomic_add_f32 v4, v41, s[16:17]                    // 000000004AD4: DD348000 00102904
	v_add_u32_e64 v4, v4, s31                                  // 000000004ADC: D1340004 00003F04
	global_atomic_add_f32 v4, v42, s[16:17]                    // 000000004AE4: DD348000 00102A04
	v_add_u32_e64 v4, v4, s31                                  // 000000004AEC: D1340004 00003F04
	global_atomic_add_f32 v4, v43, s[16:17]                    // 000000004AF4: DD348000 00102B04
	v_add_u32_e64 v4, v4, s31                                  // 000000004AFC: D1340004 00003F04
	s_barrier                                                  // 000000004B04: BF8A0000
	s_cmp_eq_u32 s24, 0                                        // 000000004B08: BF068018
	s_cbranch_scc0 label_0B0E                                  // 000000004B0C: BF8402CA
	s_atomic_dec s52, s[40:41], s62                            // 000000004B10: C2300D14 0000003E
	s_branch label_0B0E                                        // 000000004B18: BF8202C7

0000000000004b1c <label_0847>:
	v_lshrrev_b32_e32 v4, 4, v0                                // 000000004B1C: 20080084
	v_mul_u32_u24_e32 v22, 34, v4                              // 000000004B20: 102C08A2
	v_and_b32_e32 v4, 15, v0                                   // 000000004B24: 2608008F
	v_mul_lo_u32 v5, 2, v4                                     // 000000004B28: D2850005 00020882
	v_add_u32_e32 v22, v5, v22                                 // 000000004B30: 682C2D05
	s_mul_i32 s31, s24, 0x88                                   // 000000004B34: 921FFF18 00000088
	v_add_u32_e32 v22, s31, v22                                // 000000004B3C: 682C2C1F
	v_lshlrev_b32_e32 v22, 2, v22                              // 000000004B40: 242C2C82
	v_and_b32_e32 v4, 31, v0                                   // 000000004B44: 2608009F
	v_lshrrev_b32_e32 v5, 1, v4                                // 000000004B48: 200A0881
	v_mul_u32_u24_e32 v31, 34, v5                              // 000000004B4C: 103E0AA2
	v_and_b32_e32 v5, 1, v4                                    // 000000004B50: 260A0881
	v_add_u32_e32 v31, v5, v31                                 // 000000004B54: 683E3F05
	v_lshrrev_b32_e32 v4, 5, v0                                // 000000004B58: 20080085
	v_mul_u32_u24_e32 v4, 8, v4                                // 000000004B5C: 10080888
	v_add_u32_e32 v31, v4, v31                                 // 000000004B60: 683E3F04
	s_mul_i32 s31, s24, 2                                      // 000000004B64: 921F8218
	v_add_u32_e32 v31, s31, v31                                // 000000004B68: 683E3E1F
	v_lshlrev_b32_e32 v31, 2, v31                              // 000000004B6C: 243E3E82
	s_waitcnt vmcnt(0) expcnt(0) lgkmcnt(0)                    // 000000004B70: BF8C0000
	s_barrier                                                  // 000000004B74: BF8A0000
	v_cmp_u_f32_e64 s[60:61], v32, v32                         // 000000004B78: D048003C 00024120
	v_add3_u32 v8, v32, v11, 1                                 // 000000004B80: D1FF0008 02061720
	v_cndmask_b32_e64 v4, v8, v10, s[60:61]                    // 000000004B88: D1000004 00F21508
	v_cmp_u_f32_e64 s[60:61], v33, v33                         // 000000004B90: D048003C 00024321
	v_add3_u32 v8, v33, v11, 1                                 // 000000004B98: D1FF0008 02061721
	v_cndmask_b32_e64 v5, v8, v10, s[60:61]                    // 000000004BA0: D1000005 00F21508
	v_perm_b32 v44, v5, v4, s35                                // 000000004BA8: D1ED002C 008E0905
	v_cmp_u_f32_e64 s[60:61], v34, v34                         // 000000004BB0: D048003C 00024522
	v_add3_u32 v8, v34, v11, 1                                 // 000000004BB8: D1FF0008 02061722
	v_cndmask_b32_e64 v4, v8, v10, s[60:61]                    // 000000004BC0: D1000004 00F21508
	v_cmp_u_f32_e64 s[60:61], v35, v35                         // 000000004BC8: D048003C 00024723
	v_add3_u32 v8, v35, v11, 1                                 // 000000004BD0: D1FF0008 02061723
	v_cndmask_b32_e64 v5, v8, v10, s[60:61]                    // 000000004BD8: D1000005 00F21508
	v_perm_b32 v45, v5, v4, s35                                // 000000004BE0: D1ED002D 008E0905
	v_cmp_u_f32_e64 s[60:61], v36, v36                         // 000000004BE8: D048003C 00024924
	v_add3_u32 v8, v36, v11, 1                                 // 000000004BF0: D1FF0008 02061724
	v_cndmask_b32_e64 v4, v8, v10, s[60:61]                    // 000000004BF8: D1000004 00F21508
	v_cmp_u_f32_e64 s[60:61], v37, v37                         // 000000004C00: D048003C 00024B25
	v_add3_u32 v8, v37, v11, 1                                 // 000000004C08: D1FF0008 02061725
	v_cndmask_b32_e64 v5, v8, v10, s[60:61]                    // 000000004C10: D1000005 00F21508
	v_perm_b32 v46, v5, v4, s35                                // 000000004C18: D1ED002E 008E0905
	v_cmp_u_f32_e64 s[60:61], v38, v38                         // 000000004C20: D048003C 00024D26
	v_add3_u32 v8, v38, v11, 1                                 // 000000004C28: D1FF0008 02061726
	v_cndmask_b32_e64 v4, v8, v10, s[60:61]                    // 000000004C30: D1000004 00F21508
	v_cmp_u_f32_e64 s[60:61], v39, v39                         // 000000004C38: D048003C 00024F27
	v_add3_u32 v8, v39, v11, 1                                 // 000000004C40: D1FF0008 02061727
	v_cndmask_b32_e64 v5, v8, v10, s[60:61]                    // 000000004C48: D1000005 00F21508
	v_perm_b32 v47, v5, v4, s35                                // 000000004C50: D1ED002F 008E0905
	v_cmp_u_f32_e64 s[60:61], v40, v40                         // 000000004C58: D048003C 00025128
	v_add3_u32 v8, v40, v11, 1                                 // 000000004C60: D1FF0008 02061728
	v_cndmask_b32_e64 v4, v8, v10, s[60:61]                    // 000000004C68: D1000004 00F21508
	v_cmp_u_f32_e64 s[60:61], v41, v41                         // 000000004C70: D048003C 00025329
	v_add3_u32 v8, v41, v11, 1                                 // 000000004C78: D1FF0008 02061729
	v_cndmask_b32_e64 v5, v8, v10, s[60:61]                    // 000000004C80: D1000005 00F21508
	v_perm_b32 v48, v5, v4, s35                                // 000000004C88: D1ED0030 008E0905
	v_cmp_u_f32_e64 s[60:61], v42, v42                         // 000000004C90: D048003C 0002552A
	v_add3_u32 v8, v42, v11, 1                                 // 000000004C98: D1FF0008 0206172A
	v_cndmask_b32_e64 v4, v8, v10, s[60:61]                    // 000000004CA0: D1000004 00F21508
	v_cmp_u_f32_e64 s[60:61], v43, v43                         // 000000004CA8: D048003C 0002572B
	v_add3_u32 v8, v43, v11, 1                                 // 000000004CB0: D1FF0008 0206172B
	v_cndmask_b32_e64 v5, v8, v10, s[60:61]                    // 000000004CB8: D1000005 00F21508
	v_perm_b32 v49, v5, v4, s35                                // 000000004CC0: D1ED0031 008E0905
	ds_write_b64 v22, v[44:45]                                 // 000000004CC8: D89A0000 00002C16
	ds_write_b64 v22, v[46:47] offset:2176                     // 000000004CD0: D89A0880 00002E16
	ds_write_b64 v22, v[48:49] offset:4352                     // 000000004CD8: D89A1100 00003016
	s_waitcnt lgkmcnt(0)                                       // 000000004CE0: BF8CC07F
	s_barrier                                                  // 000000004CE4: BF8A0000
	ds_read_b32 v44, v31                                       // 000000004CE8: D86C0000 2C00001F
	ds_read_b32 v45, v31 offset:64                             // 000000004CF0: D86C0040 2D00001F
	ds_read_b32 v46, v31 offset:2176                           // 000000004CF8: D86C0880 2E00001F
	ds_read_b32 v47, v31 offset:2240                           // 000000004D00: D86C08C0 2F00001F
	ds_read_b32 v48, v31 offset:4352                           // 000000004D08: D86C1100 3000001F
	ds_read_b32 v49, v31 offset:4416                           // 000000004D10: D86C1140 3100001F
	s_waitcnt lgkmcnt(0)                                       // 000000004D18: BF8CC07F
	s_cmp_eq_u32 s24, 0                                        // 000000004D1C: BF068018
	s_cbranch_scc0 label_08CF                                  // 000000004D20: BF840006
	s_mov_b32 s31, 0                                           // 000000004D24: BE9F0080

0000000000004d28 <label_08CA>:
	s_load_dword s32, s[40:41], s62 glc                        // 000000004D28: C0010814 0000003E
	s_waitcnt lgkmcnt(0)                                       // 000000004D30: BF8CC07F
	s_cmp_gt_u32 s32, s31                                      // 000000004D34: BF081F20
	s_cbranch_scc0 label_08CA                                  // 000000004D38: BF84FFFB

0000000000004d3c <label_08CF>:
	s_barrier                                                  // 000000004D3C: BF8A0000
	s_mul_i32 s31, s30, 8                                      // 000000004D40: 921F881E
	v_mov_b32_e32 v4, v15                                      // 000000004D44: 7E08030F
	global_atomic_pk_add_bf16 v4, v44, s[16:17]                // 000000004D48: DD488000 00102C04
	v_add_u32_e64 v4, v4, s31                                  // 000000004D50: D1340004 00003F04
	global_atomic_pk_add_bf16 v4, v45, s[16:17]                // 000000004D58: DD488000 00102D04
	v_add_u32_e64 v4, v4, s31                                  // 000000004D60: D1340004 00003F04
	global_atomic_pk_add_bf16 v4, v46, s[16:17]                // 000000004D68: DD488000 00102E04
	v_add_u32_e64 v4, v4, s31                                  // 000000004D70: D1340004 00003F04
	global_atomic_pk_add_bf16 v4, v47, s[16:17]                // 000000004D78: DD488000 00102F04
	v_add_u32_e64 v4, v4, s31                                  // 000000004D80: D1340004 00003F04
	global_atomic_pk_add_bf16 v4, v48, s[16:17]                // 000000004D88: DD488000 00103004
	v_add_u32_e64 v4, v4, s31                                  // 000000004D90: D1340004 00003F04
	global_atomic_pk_add_bf16 v4, v49, s[16:17]                // 000000004D98: DD488000 00103104
	v_add_u32_e64 v4, v4, s31                                  // 000000004DA0: D1340004 00003F04
	s_barrier                                                  // 000000004DA8: BF8A0000
	s_cmp_eq_u32 s24, 0                                        // 000000004DAC: BF068018
	s_cbranch_scc0 label_0B0E                                  // 000000004DB0: BF840221
	s_atomic_dec s52, s[40:41], s62                            // 000000004DB4: C2300D14 0000003E
	s_branch label_0B0E                                        // 000000004DBC: BF82021E

0000000000004dc0 <label_08F0>:
	v_mov_b32_e32 v5, 0                                        // 000000004DC0: 7E0A0280
	s_and_b32 s17, s17, 0xffff                                 // 000000004DC4: 8611FF11 0000FFFF
	s_cmp_lt_u32 s54, 1                                        // 000000004DCC: BF0A8136
	s_cbranch_scc0 label_0996                                  // 000000004DD0: BF8400A1
	v_lshrrev_b32_e32 v4, 4, v0                                // 000000004DD4: 20080084
	v_mul_u32_u24_e32 v22, 0x44, v4                            // 000000004DD8: 102C08FF 00000044
	v_and_b32_e32 v4, 15, v0                                   // 000000004DE0: 2608008F
	v_mul_lo_u32 v5, 4, v4                                     // 000000004DE4: D2850005 00020884
	v_add_u32_e32 v22, v5, v22                                 // 000000004DEC: 682C2D05
	s_mul_i32 s31, s24, 0x110                                  // 000000004DF0: 921FFF18 00000110
	v_add_u32_e32 v22, s31, v22                                // 000000004DF8: 682C2C1F
	v_lshlrev_b32_e32 v22, 2, v22                              // 000000004DFC: 242C2C82
	v_lshrrev_b32_e32 v4, 2, v0                                // 000000004E00: 20080082
	v_mul_u32_u24_e32 v31, 0x44, v4                            // 000000004E04: 103E08FF 00000044
	v_and_b32_e32 v4, 3, v0                                    // 000000004E0C: 26080083
	v_add_u32_e32 v31, v4, v31                                 // 000000004E10: 683E3F04
	s_mul_i32 s31, s24, 4                                      // 000000004E14: 921F8418
	v_add_u32_e32 v31, s31, v31                                // 000000004E18: 683E3E1F
	v_lshlrev_b32_e32 v31, 2, v31                              // 000000004E1C: 243E3E82
	s_lshr_b32 s31, s55, 2                                     // 000000004E20: 8F1F8237
	s_and_b32 s32, s55, 3                                      // 000000004E24: 86208337
	s_cmp_lt_u32 s24, s32                                      // 000000004E28: BF0A2018
	s_cselect_b32 s32, 1, 0                                    // 000000004E2C: 85208081
	s_add_u32 s55, s31, s32                                    // 000000004E30: 8037201F
	s_mov_b32 s33, 0                                           // 000000004E34: BEA10080
	s_waitcnt vmcnt(0) expcnt(0) lgkmcnt(0)                    // 000000004E38: BF8C0000
	s_barrier                                                  // 000000004E3C: BF8A0000
	ds_write_b128 v22, v[32:35]                                // 000000004E40: D9BE0000 00002016
	ds_write_b128 v22, v[36:39] offset:4352                    // 000000004E48: D9BE1100 00002416
	ds_write_b128 v22, v[40:43] offset:8704                    // 000000004E50: D9BE2200 00002816
	s_waitcnt lgkmcnt(0)                                       // 000000004E58: BF8CC07F
	s_barrier                                                  // 000000004E5C: BF8A0000
	ds_read_b32 v32, v31                                       // 000000004E60: D86C0000 2000001F
	ds_read_b32 v33, v31 offset:64                             // 000000004E68: D86C0040 2100001F
	ds_read_b32 v34, v31 offset:128                            // 000000004E70: D86C0080 2200001F
	ds_read_b32 v35, v31 offset:192                            // 000000004E78: D86C00C0 2300001F
	ds_read_b32 v36, v31 offset:4352                           // 000000004E80: D86C1100 2400001F
	ds_read_b32 v37, v31 offset:4416                           // 000000004E88: D86C1140 2500001F
	ds_read_b32 v38, v31 offset:4480                           // 000000004E90: D86C1180 2600001F
	ds_read_b32 v39, v31 offset:4544                           // 000000004E98: D86C11C0 2700001F
	ds_read_b32 v40, v31 offset:8704                           // 000000004EA0: D86C2200 2800001F
	ds_read_b32 v41, v31 offset:8768                           // 000000004EA8: D86C2240 2900001F
	ds_read_b32 v42, v31 offset:8832                           // 000000004EB0: D86C2280 2A00001F
	ds_read_b32 v43, v31 offset:8896                           // 000000004EB8: D86C22C0 2B00001F
	s_waitcnt lgkmcnt(0)                                       // 000000004EC0: BF8CC07F
	s_cmp_eq_u32 s24, 0                                        // 000000004EC4: BF068018
	s_cbranch_scc0 label_0939                                  // 000000004EC8: BF840006
	s_mov_b32 s31, 0                                           // 000000004ECC: BE9F0080

0000000000004ed0 <label_0934>:
	s_load_dword s32, s[40:41], s62 glc                        // 000000004ED0: C0010814 0000003E
	s_waitcnt lgkmcnt(0)                                       // 000000004ED8: BF8CC07F
	s_cmp_gt_u32 s32, s31                                      // 000000004EDC: BF081F20
	s_cbranch_scc0 label_0934                                  // 000000004EE0: BF84FFFB

0000000000004ee4 <label_0939>:
	s_barrier                                                  // 000000004EE4: BF8A0000
	s_mul_i32 s31, s30, 4                                      // 000000004EE8: 921F841E
	v_mov_b32_e32 v4, v15                                      // 000000004EEC: 7E08030F
	s_cmp_lt_i32 s33, s55                                      // 000000004EF0: BF043721
	s_cbranch_scc0 label_0990                                  // 000000004EF4: BF840052
	global_atomic_add_f32 v4, v32, s[16:17]                    // 000000004EF8: DD348000 00102004
	v_add_u32_e64 v4, v4, s31                                  // 000000004F00: D1340004 00003F04
	s_addk_i32 s33, 0x1                                        // 000000004F08: B7210001
	s_cmp_lt_i32 s33, s55                                      // 000000004F0C: BF043721
	s_cbranch_scc0 label_0990                                  // 000000004F10: BF84004B
	global_atomic_add_f32 v4, v33, s[16:17]                    // 000000004F14: DD348000 00102104
	v_add_u32_e64 v4, v4, s31                                  // 000000004F1C: D1340004 00003F04
	s_addk_i32 s33, 0x1                                        // 000000004F24: B7210001
	s_cmp_lt_i32 s33, s55                                      // 000000004F28: BF043721
	s_cbranch_scc0 label_0990                                  // 000000004F2C: BF840044
	global_atomic_add_f32 v4, v34, s[16:17]                    // 000000004F30: DD348000 00102204
	v_add_u32_e64 v4, v4, s31                                  // 000000004F38: D1340004 00003F04
	s_addk_i32 s33, 0x1                                        // 000000004F40: B7210001
	s_cmp_lt_i32 s33, s55                                      // 000000004F44: BF043721
	s_cbranch_scc0 label_0990                                  // 000000004F48: BF84003D
	global_atomic_add_f32 v4, v35, s[16:17]                    // 000000004F4C: DD348000 00102304
	v_add_u32_e64 v4, v4, s31                                  // 000000004F54: D1340004 00003F04
	s_addk_i32 s33, 0x1                                        // 000000004F5C: B7210001
	s_cmp_lt_i32 s33, s55                                      // 000000004F60: BF043721
	s_cbranch_scc0 label_0990                                  // 000000004F64: BF840036
	global_atomic_add_f32 v4, v36, s[16:17]                    // 000000004F68: DD348000 00102404
	v_add_u32_e64 v4, v4, s31                                  // 000000004F70: D1340004 00003F04
	s_addk_i32 s33, 0x1                                        // 000000004F78: B7210001
	s_cmp_lt_i32 s33, s55                                      // 000000004F7C: BF043721
	s_cbranch_scc0 label_0990                                  // 000000004F80: BF84002F
	global_atomic_add_f32 v4, v37, s[16:17]                    // 000000004F84: DD348000 00102504
	v_add_u32_e64 v4, v4, s31                                  // 000000004F8C: D1340004 00003F04
	s_addk_i32 s33, 0x1                                        // 000000004F94: B7210001
	s_cmp_lt_i32 s33, s55                                      // 000000004F98: BF043721
	s_cbranch_scc0 label_0990                                  // 000000004F9C: BF840028
	global_atomic_add_f32 v4, v38, s[16:17]                    // 000000004FA0: DD348000 00102604
	v_add_u32_e64 v4, v4, s31                                  // 000000004FA8: D1340004 00003F04
	s_addk_i32 s33, 0x1                                        // 000000004FB0: B7210001
	s_cmp_lt_i32 s33, s55                                      // 000000004FB4: BF043721
	s_cbranch_scc0 label_0990                                  // 000000004FB8: BF840021
	global_atomic_add_f32 v4, v39, s[16:17]                    // 000000004FBC: DD348000 00102704
	v_add_u32_e64 v4, v4, s31                                  // 000000004FC4: D1340004 00003F04
	s_addk_i32 s33, 0x1                                        // 000000004FCC: B7210001
	s_cmp_lt_i32 s33, s55                                      // 000000004FD0: BF043721
	s_cbranch_scc0 label_0990                                  // 000000004FD4: BF84001A
	global_atomic_add_f32 v4, v40, s[16:17]                    // 000000004FD8: DD348000 00102804
	v_add_u32_e64 v4, v4, s31                                  // 000000004FE0: D1340004 00003F04
	s_addk_i32 s33, 0x1                                        // 000000004FE8: B7210001
	s_cmp_lt_i32 s33, s55                                      // 000000004FEC: BF043721
	s_cbranch_scc0 label_0990                                  // 000000004FF0: BF840013
	global_atomic_add_f32 v4, v41, s[16:17]                    // 000000004FF4: DD348000 00102904
	v_add_u32_e64 v4, v4, s31                                  // 000000004FFC: D1340004 00003F04
	s_addk_i32 s33, 0x1                                        // 000000005004: B7210001
	s_cmp_lt_i32 s33, s55                                      // 000000005008: BF043721
	s_cbranch_scc0 label_0990                                  // 00000000500C: BF84000C
	global_atomic_add_f32 v4, v42, s[16:17]                    // 000000005010: DD348000 00102A04
	v_add_u32_e64 v4, v4, s31                                  // 000000005018: D1340004 00003F04
	s_addk_i32 s33, 0x1                                        // 000000005020: B7210001
	s_cmp_lt_i32 s33, s55                                      // 000000005024: BF043721
	s_cbranch_scc0 label_0990                                  // 000000005028: BF840005
	global_atomic_add_f32 v4, v43, s[16:17]                    // 00000000502C: DD348000 00102B04
	v_add_u32_e64 v4, v4, s31                                  // 000000005034: D1340004 00003F04
	s_addk_i32 s33, 0x1                                        // 00000000503C: B7210001

0000000000005040 <label_0990>:
	s_barrier                                                  // 000000005040: BF8A0000
	s_cmp_eq_u32 s24, 0                                        // 000000005044: BF068018
	s_cbranch_scc0 label_0B0E                                  // 000000005048: BF84017B
	s_atomic_dec s52, s[40:41], s62                            // 00000000504C: C2300D14 0000003E
	s_branch label_0B0E                                        // 000000005054: BF820178

0000000000005058 <label_0996>:
	v_lshrrev_b32_e32 v4, 4, v0                                // 000000005058: 20080084
	v_mul_u32_u24_e32 v22, 34, v4                              // 00000000505C: 102C08A2
	v_and_b32_e32 v4, 15, v0                                   // 000000005060: 2608008F
	v_mul_lo_u32 v5, 2, v4                                     // 000000005064: D2850005 00020882
	v_add_u32_e32 v22, v5, v22                                 // 00000000506C: 682C2D05
	s_mul_i32 s31, s24, 0x88                                   // 000000005070: 921FFF18 00000088
	v_add_u32_e32 v22, s31, v22                                // 000000005078: 682C2C1F
	v_lshlrev_b32_e32 v22, 2, v22                              // 00000000507C: 242C2C82
	v_and_b32_e32 v4, 31, v0                                   // 000000005080: 2608009F
	v_lshrrev_b32_e32 v5, 1, v4                                // 000000005084: 200A0881
	v_mul_u32_u24_e32 v31, 34, v5                              // 000000005088: 103E0AA2
	v_and_b32_e32 v5, 1, v4                                    // 00000000508C: 260A0881
	v_add_u32_e32 v31, v5, v31                                 // 000000005090: 683E3F05
	v_lshrrev_b32_e32 v4, 5, v0                                // 000000005094: 20080085
	v_mul_u32_u24_e32 v4, 8, v4                                // 000000005098: 10080888
	v_add_u32_e32 v31, v4, v31                                 // 00000000509C: 683E3F04
	s_mul_i32 s31, s24, 2                                      // 0000000050A0: 921F8218
	v_add_u32_e32 v31, s31, v31                                // 0000000050A4: 683E3E1F
	v_lshlrev_b32_e32 v31, 2, v31                              // 0000000050A8: 243E3E82
	s_lshr_b32 s31, s55, 2                                     // 0000000050AC: 8F1F8237
	s_and_b32 s32, s55, 3                                      // 0000000050B0: 86208337
	s_cmp_lt_u32 s24, s32                                      // 0000000050B4: BF0A2018
	s_cselect_b32 s32, 1, 0                                    // 0000000050B8: 85208081
	s_add_u32 s55, s31, s32                                    // 0000000050BC: 8037201F
	s_mov_b32 s33, 0                                           // 0000000050C0: BEA10080
	s_waitcnt vmcnt(0) expcnt(0) lgkmcnt(0)                    // 0000000050C4: BF8C0000
	s_barrier                                                  // 0000000050C8: BF8A0000
	v_cmp_u_f32_e64 s[60:61], v32, v32                         // 0000000050CC: D048003C 00024120
	v_add3_u32 v8, v32, v11, 1                                 // 0000000050D4: D1FF0008 02061720
	v_cndmask_b32_e64 v4, v8, v10, s[60:61]                    // 0000000050DC: D1000004 00F21508
	v_cmp_u_f32_e64 s[60:61], v33, v33                         // 0000000050E4: D048003C 00024321
	v_add3_u32 v8, v33, v11, 1                                 // 0000000050EC: D1FF0008 02061721
	v_cndmask_b32_e64 v5, v8, v10, s[60:61]                    // 0000000050F4: D1000005 00F21508
	v_perm_b32 v44, v5, v4, s35                                // 0000000050FC: D1ED002C 008E0905
	v_cmp_u_f32_e64 s[60:61], v34, v34                         // 000000005104: D048003C 00024522
	v_add3_u32 v8, v34, v11, 1                                 // 00000000510C: D1FF0008 02061722
	v_cndmask_b32_e64 v4, v8, v10, s[60:61]                    // 000000005114: D1000004 00F21508
	v_cmp_u_f32_e64 s[60:61], v35, v35                         // 00000000511C: D048003C 00024723
	v_add3_u32 v8, v35, v11, 1                                 // 000000005124: D1FF0008 02061723
	v_cndmask_b32_e64 v5, v8, v10, s[60:61]                    // 00000000512C: D1000005 00F21508
	v_perm_b32 v45, v5, v4, s35                                // 000000005134: D1ED002D 008E0905
	v_cmp_u_f32_e64 s[60:61], v36, v36                         // 00000000513C: D048003C 00024924
	v_add3_u32 v8, v36, v11, 1                                 // 000000005144: D1FF0008 02061724
	v_cndmask_b32_e64 v4, v8, v10, s[60:61]                    // 00000000514C: D1000004 00F21508
	v_cmp_u_f32_e64 s[60:61], v37, v37                         // 000000005154: D048003C 00024B25
	v_add3_u32 v8, v37, v11, 1                                 // 00000000515C: D1FF0008 02061725
	v_cndmask_b32_e64 v5, v8, v10, s[60:61]                    // 000000005164: D1000005 00F21508
	v_perm_b32 v46, v5, v4, s35                                // 00000000516C: D1ED002E 008E0905
	v_cmp_u_f32_e64 s[60:61], v38, v38                         // 000000005174: D048003C 00024D26
	v_add3_u32 v8, v38, v11, 1                                 // 00000000517C: D1FF0008 02061726
	v_cndmask_b32_e64 v4, v8, v10, s[60:61]                    // 000000005184: D1000004 00F21508
	v_cmp_u_f32_e64 s[60:61], v39, v39                         // 00000000518C: D048003C 00024F27
	v_add3_u32 v8, v39, v11, 1                                 // 000000005194: D1FF0008 02061727
	v_cndmask_b32_e64 v5, v8, v10, s[60:61]                    // 00000000519C: D1000005 00F21508
	v_perm_b32 v47, v5, v4, s35                                // 0000000051A4: D1ED002F 008E0905
	v_cmp_u_f32_e64 s[60:61], v40, v40                         // 0000000051AC: D048003C 00025128
	v_add3_u32 v8, v40, v11, 1                                 // 0000000051B4: D1FF0008 02061728
	v_cndmask_b32_e64 v4, v8, v10, s[60:61]                    // 0000000051BC: D1000004 00F21508
	v_cmp_u_f32_e64 s[60:61], v41, v41                         // 0000000051C4: D048003C 00025329
	v_add3_u32 v8, v41, v11, 1                                 // 0000000051CC: D1FF0008 02061729
	v_cndmask_b32_e64 v5, v8, v10, s[60:61]                    // 0000000051D4: D1000005 00F21508
	v_perm_b32 v48, v5, v4, s35                                // 0000000051DC: D1ED0030 008E0905
	v_cmp_u_f32_e64 s[60:61], v42, v42                         // 0000000051E4: D048003C 0002552A
	v_add3_u32 v8, v42, v11, 1                                 // 0000000051EC: D1FF0008 0206172A
	v_cndmask_b32_e64 v4, v8, v10, s[60:61]                    // 0000000051F4: D1000004 00F21508
	v_cmp_u_f32_e64 s[60:61], v43, v43                         // 0000000051FC: D048003C 0002572B
	v_add3_u32 v8, v43, v11, 1                                 // 000000005204: D1FF0008 0206172B
	v_cndmask_b32_e64 v5, v8, v10, s[60:61]                    // 00000000520C: D1000005 00F21508
	v_perm_b32 v49, v5, v4, s35                                // 000000005214: D1ED0031 008E0905
	ds_write_b64 v22, v[44:45]                                 // 00000000521C: D89A0000 00002C16
	ds_write_b64 v22, v[46:47] offset:2176                     // 000000005224: D89A0880 00002E16
	ds_write_b64 v22, v[48:49] offset:4352                     // 00000000522C: D89A1100 00003016
	s_waitcnt lgkmcnt(0)                                       // 000000005234: BF8CC07F
	s_barrier                                                  // 000000005238: BF8A0000
	ds_read_b32 v44, v31                                       // 00000000523C: D86C0000 2C00001F
	ds_read_b32 v45, v31 offset:64                             // 000000005244: D86C0040 2D00001F
	ds_read_b32 v46, v31 offset:2176                           // 00000000524C: D86C0880 2E00001F
	ds_read_b32 v47, v31 offset:2240                           // 000000005254: D86C08C0 2F00001F
	ds_read_b32 v48, v31 offset:4352                           // 00000000525C: D86C1100 3000001F
	ds_read_b32 v49, v31 offset:4416                           // 000000005264: D86C1140 3100001F
	s_waitcnt lgkmcnt(0)                                       // 00000000526C: BF8CC07F
	s_cmp_eq_u32 s24, 0                                        // 000000005270: BF068018
	s_cbranch_scc0 label_0A24                                  // 000000005274: BF840006
	s_mov_b32 s31, 0                                           // 000000005278: BE9F0080

000000000000527c <label_0A1F>:
	s_load_dword s32, s[40:41], s62 glc                        // 00000000527C: C0010814 0000003E
	s_waitcnt lgkmcnt(0)                                       // 000000005284: BF8CC07F
	s_cmp_gt_u32 s32, s31                                      // 000000005288: BF081F20
	s_cbranch_scc0 label_0A1F                                  // 00000000528C: BF84FFFB

0000000000005290 <label_0A24>:
	s_barrier                                                  // 000000005290: BF8A0000
	s_mul_i32 s31, s30, 8                                      // 000000005294: 921F881E
	v_mov_b32_e32 v4, v15                                      // 000000005298: 7E08030F
	s_cmp_lt_i32 s33, s55                                      // 00000000529C: BF043721
	s_cbranch_scc0 label_0AA5                                  // 0000000052A0: BF84007C
	s_mov_b32 s58, -1                                          // 0000000052A4: BEBA00C1
	s_mov_b32 s59, 0                                           // 0000000052A8: BEBB0080
	s_mov_b64 exec, s[58:59]                                   // 0000000052AC: BEFE013A
	global_atomic_pk_add_bf16 v4, v44, s[16:17]                // 0000000052B0: DD488000 00102C04
	s_addk_i32 s33, 0x1                                        // 0000000052B8: B7210001
	s_cmp_lt_i32 s33, s55                                      // 0000000052BC: BF043721
	s_cbranch_scc0 label_0AA5                                  // 0000000052C0: BF840074
	s_mov_b32 s58, 0                                           // 0000000052C4: BEBA0080
	s_mov_b32 s59, -1                                          // 0000000052C8: BEBB00C1
	s_mov_b64 exec, s[58:59]                                   // 0000000052CC: BEFE013A
	global_atomic_pk_add_bf16 v4, v44, s[16:17]                // 0000000052D0: DD488000 00102C04
	s_addk_i32 s33, 0x1                                        // 0000000052D8: B7210001
	s_mov_b32 s58, -1                                          // 0000000052DC: BEBA00C1
	s_mov_b32 s59, -1                                          // 0000000052E0: BEBB00C1
	s_mov_b64 exec, s[58:59]                                   // 0000000052E4: BEFE013A
	v_add_u32_e64 v4, v4, s31                                  // 0000000052E8: D1340004 00003F04
	s_cmp_lt_i32 s33, s55                                      // 0000000052F0: BF043721
	s_cbranch_scc0 label_0AA5                                  // 0000000052F4: BF840067
	s_mov_b32 s58, -1                                          // 0000000052F8: BEBA00C1
	s_mov_b32 s59, 0                                           // 0000000052FC: BEBB0080
	s_mov_b64 exec, s[58:59]                                   // 000000005300: BEFE013A
	global_atomic_pk_add_bf16 v4, v45, s[16:17]                // 000000005304: DD488000 00102D04
	s_addk_i32 s33, 0x1                                        // 00000000530C: B7210001
	s_cmp_lt_i32 s33, s55                                      // 000000005310: BF043721
	s_cbranch_scc0 label_0AA5                                  // 000000005314: BF84005F
	s_mov_b32 s58, 0                                           // 000000005318: BEBA0080
	s_mov_b32 s59, -1                                          // 00000000531C: BEBB00C1
	s_mov_b64 exec, s[58:59]                                   // 000000005320: BEFE013A
	global_atomic_pk_add_bf16 v4, v45, s[16:17]                // 000000005324: DD488000 00102D04
	s_addk_i32 s33, 0x1                                        // 00000000532C: B7210001
	s_mov_b32 s58, -1                                          // 000000005330: BEBA00C1
	s_mov_b32 s59, -1                                          // 000000005334: BEBB00C1
	s_mov_b64 exec, s[58:59]                                   // 000000005338: BEFE013A
	v_add_u32_e64 v4, v4, s31                                  // 00000000533C: D1340004 00003F04
	s_cmp_lt_i32 s33, s55                                      // 000000005344: BF043721
	s_cbranch_scc0 label_0AA5                                  // 000000005348: BF840052
	s_mov_b32 s58, -1                                          // 00000000534C: BEBA00C1
	s_mov_b32 s59, 0                                           // 000000005350: BEBB0080
	s_mov_b64 exec, s[58:59]                                   // 000000005354: BEFE013A
	global_atomic_pk_add_bf16 v4, v46, s[16:17]                // 000000005358: DD488000 00102E04
	s_addk_i32 s33, 0x1                                        // 000000005360: B7210001
	s_cmp_lt_i32 s33, s55                                      // 000000005364: BF043721
	s_cbranch_scc0 label_0AA5                                  // 000000005368: BF84004A
	s_mov_b32 s58, 0                                           // 00000000536C: BEBA0080
	s_mov_b32 s59, -1                                          // 000000005370: BEBB00C1
	s_mov_b64 exec, s[58:59]                                   // 000000005374: BEFE013A
	global_atomic_pk_add_bf16 v4, v46, s[16:17]                // 000000005378: DD488000 00102E04
	s_addk_i32 s33, 0x1                                        // 000000005380: B7210001
	s_mov_b32 s58, -1                                          // 000000005384: BEBA00C1
	s_mov_b32 s59, -1                                          // 000000005388: BEBB00C1
	s_mov_b64 exec, s[58:59]                                   // 00000000538C: BEFE013A
	v_add_u32_e64 v4, v4, s31                                  // 000000005390: D1340004 00003F04
	s_cmp_lt_i32 s33, s55                                      // 000000005398: BF043721
	s_cbranch_scc0 label_0AA5                                  // 00000000539C: BF84003D
	s_mov_b32 s58, -1                                          // 0000000053A0: BEBA00C1
	s_mov_b32 s59, 0                                           // 0000000053A4: BEBB0080
	s_mov_b64 exec, s[58:59]                                   // 0000000053A8: BEFE013A
	global_atomic_pk_add_bf16 v4, v47, s[16:17]                // 0000000053AC: DD488000 00102F04
	s_addk_i32 s33, 0x1                                        // 0000000053B4: B7210001
	s_cmp_lt_i32 s33, s55                                      // 0000000053B8: BF043721
	s_cbranch_scc0 label_0AA5                                  // 0000000053BC: BF840035
	s_mov_b32 s58, 0                                           // 0000000053C0: BEBA0080
	s_mov_b32 s59, -1                                          // 0000000053C4: BEBB00C1
	s_mov_b64 exec, s[58:59]                                   // 0000000053C8: BEFE013A
	global_atomic_pk_add_bf16 v4, v47, s[16:17]                // 0000000053CC: DD488000 00102F04
	s_addk_i32 s33, 0x1                                        // 0000000053D4: B7210001
	s_mov_b32 s58, -1                                          // 0000000053D8: BEBA00C1
	s_mov_b32 s59, -1                                          // 0000000053DC: BEBB00C1
	s_mov_b64 exec, s[58:59]                                   // 0000000053E0: BEFE013A
	v_add_u32_e64 v4, v4, s31                                  // 0000000053E4: D1340004 00003F04
	s_cmp_lt_i32 s33, s55                                      // 0000000053EC: BF043721
	s_cbranch_scc0 label_0AA5                                  // 0000000053F0: BF840028
	s_mov_b32 s58, -1                                          // 0000000053F4: BEBA00C1
	s_mov_b32 s59, 0                                           // 0000000053F8: BEBB0080
	s_mov_b64 exec, s[58:59]                                   // 0000000053FC: BEFE013A
	global_atomic_pk_add_bf16 v4, v48, s[16:17]                // 000000005400: DD488000 00103004
	s_addk_i32 s33, 0x1                                        // 000000005408: B7210001
	s_cmp_lt_i32 s33, s55                                      // 00000000540C: BF043721
	s_cbranch_scc0 label_0AA5                                  // 000000005410: BF840020
	s_mov_b32 s58, 0                                           // 000000005414: BEBA0080
	s_mov_b32 s59, -1                                          // 000000005418: BEBB00C1
	s_mov_b64 exec, s[58:59]                                   // 00000000541C: BEFE013A
	global_atomic_pk_add_bf16 v4, v48, s[16:17]                // 000000005420: DD488000 00103004
	s_addk_i32 s33, 0x1                                        // 000000005428: B7210001
	s_mov_b32 s58, -1                                          // 00000000542C: BEBA00C1
	s_mov_b32 s59, -1                                          // 000000005430: BEBB00C1
	s_mov_b64 exec, s[58:59]                                   // 000000005434: BEFE013A
	v_add_u32_e64 v4, v4, s31                                  // 000000005438: D1340004 00003F04
	s_cmp_lt_i32 s33, s55                                      // 000000005440: BF043721
	s_cbranch_scc0 label_0AA5                                  // 000000005444: BF840013
	s_mov_b32 s58, -1                                          // 000000005448: BEBA00C1
	s_mov_b32 s59, 0                                           // 00000000544C: BEBB0080
	s_mov_b64 exec, s[58:59]                                   // 000000005450: BEFE013A
	global_atomic_pk_add_bf16 v4, v49, s[16:17]                // 000000005454: DD488000 00103104
	s_addk_i32 s33, 0x1                                        // 00000000545C: B7210001
	s_cmp_lt_i32 s33, s55                                      // 000000005460: BF043721
	s_cbranch_scc0 label_0AA5                                  // 000000005464: BF84000B
	s_mov_b32 s58, 0                                           // 000000005468: BEBA0080
	s_mov_b32 s59, -1                                          // 00000000546C: BEBB00C1
	s_mov_b64 exec, s[58:59]                                   // 000000005470: BEFE013A
	global_atomic_pk_add_bf16 v4, v49, s[16:17]                // 000000005474: DD488000 00103104
	s_addk_i32 s33, 0x1                                        // 00000000547C: B7210001
	s_mov_b32 s58, -1                                          // 000000005480: BEBA00C1
	s_mov_b32 s59, -1                                          // 000000005484: BEBB00C1
	s_mov_b64 exec, s[58:59]                                   // 000000005488: BEFE013A
	v_add_u32_e64 v4, v4, s31                                  // 00000000548C: D1340004 00003F04

0000000000005494 <label_0AA5>:
	s_barrier                                                  // 000000005494: BF8A0000
	s_cmp_eq_u32 s24, 0                                        // 000000005498: BF068018
	s_cbranch_scc0 label_0B0E                                  // 00000000549C: BF840066
	s_atomic_dec s52, s[40:41], s62                            // 0000000054A0: C2300D14 0000003E
	s_branch label_0B0E                                        // 0000000054A8: BF820063

00000000000054ac <label_0AAB>:
	s_cmp_lt_u32 s54, 1                                        // 0000000054AC: BF0A8136
	s_cbranch_scc0 label_0AB4                                  // 0000000054B0: BF840007
	buffer_store_dwordx4 v[32:35], v12, s[16:19], 0 offen      // 0000000054B4: E07C1000 8004200C
	buffer_store_dwordx4 v[36:39], v13, s[16:19], 0 offen      // 0000000054BC: E07C1000 8004240D
	buffer_store_dwordx4 v[40:43], v14, s[16:19], 0 offen      // 0000000054C4: E07C1000 8004280E
	s_branch label_0B0E                                        // 0000000054CC: BF82005A

00000000000054d0 <label_0AB4>:
	v_cmp_u_f32_e64 s[60:61], v32, v32                         // 0000000054D0: D048003C 00024120
	v_add3_u32 v8, v32, v11, 1                                 // 0000000054D8: D1FF0008 02061720
	v_cndmask_b32_e64 v4, v8, v10, s[60:61]                    // 0000000054E0: D1000004 00F21508
	v_cmp_u_f32_e64 s[60:61], v33, v33                         // 0000000054E8: D048003C 00024321
	v_add3_u32 v8, v33, v11, 1                                 // 0000000054F0: D1FF0008 02061721
	v_cndmask_b32_e64 v5, v8, v10, s[60:61]                    // 0000000054F8: D1000005 00F21508
	v_perm_b32 v44, v5, v4, s35                                // 000000005500: D1ED002C 008E0905
	v_cmp_u_f32_e64 s[60:61], v34, v34                         // 000000005508: D048003C 00024522
	v_add3_u32 v8, v34, v11, 1                                 // 000000005510: D1FF0008 02061722
	v_cndmask_b32_e64 v4, v8, v10, s[60:61]                    // 000000005518: D1000004 00F21508
	v_cmp_u_f32_e64 s[60:61], v35, v35                         // 000000005520: D048003C 00024723
	v_add3_u32 v8, v35, v11, 1                                 // 000000005528: D1FF0008 02061723
	v_cndmask_b32_e64 v5, v8, v10, s[60:61]                    // 000000005530: D1000005 00F21508
	v_perm_b32 v45, v5, v4, s35                                // 000000005538: D1ED002D 008E0905
	buffer_store_dwordx2 v[44:45], v12, s[16:19], 0 offen      // 000000005540: E0741000 80042C0C
	v_cmp_u_f32_e64 s[60:61], v36, v36                         // 000000005548: D048003C 00024924
	v_add3_u32 v8, v36, v11, 1                                 // 000000005550: D1FF0008 02061724
	v_cndmask_b32_e64 v4, v8, v10, s[60:61]                    // 000000005558: D1000004 00F21508
	v_cmp_u_f32_e64 s[60:61], v37, v37                         // 000000005560: D048003C 00024B25
	v_add3_u32 v8, v37, v11, 1                                 // 000000005568: D1FF0008 02061725
	v_cndmask_b32_e64 v5, v8, v10, s[60:61]                    // 000000005570: D1000005 00F21508
	v_perm_b32 v46, v5, v4, s35                                // 000000005578: D1ED002E 008E0905
	v_cmp_u_f32_e64 s[60:61], v38, v38                         // 000000005580: D048003C 00024D26
	v_add3_u32 v8, v38, v11, 1                                 // 000000005588: D1FF0008 02061726
	v_cndmask_b32_e64 v4, v8, v10, s[60:61]                    // 000000005590: D1000004 00F21508
	v_cmp_u_f32_e64 s[60:61], v39, v39                         // 000000005598: D048003C 00024F27
	v_add3_u32 v8, v39, v11, 1                                 // 0000000055A0: D1FF0008 02061727
	v_cndmask_b32_e64 v5, v8, v10, s[60:61]                    // 0000000055A8: D1000005 00F21508
	v_perm_b32 v47, v5, v4, s35                                // 0000000055B0: D1ED002F 008E0905
	buffer_store_dwordx2 v[46:47], v13, s[16:19], 0 offen      // 0000000055B8: E0741000 80042E0D
	v_cmp_u_f32_e64 s[60:61], v40, v40                         // 0000000055C0: D048003C 00025128
	v_add3_u32 v8, v40, v11, 1                                 // 0000000055C8: D1FF0008 02061728
	v_cndmask_b32_e64 v4, v8, v10, s[60:61]                    // 0000000055D0: D1000004 00F21508
	v_cmp_u_f32_e64 s[60:61], v41, v41                         // 0000000055D8: D048003C 00025329
	v_add3_u32 v8, v41, v11, 1                                 // 0000000055E0: D1FF0008 02061729
	v_cndmask_b32_e64 v5, v8, v10, s[60:61]                    // 0000000055E8: D1000005 00F21508
	v_perm_b32 v48, v5, v4, s35                                // 0000000055F0: D1ED0030 008E0905
	v_cmp_u_f32_e64 s[60:61], v42, v42                         // 0000000055F8: D048003C 0002552A
	v_add3_u32 v8, v42, v11, 1                                 // 000000005600: D1FF0008 0206172A
	v_cndmask_b32_e64 v4, v8, v10, s[60:61]                    // 000000005608: D1000004 00F21508
	v_cmp_u_f32_e64 s[60:61], v43, v43                         // 000000005610: D048003C 0002572B
	v_add3_u32 v8, v43, v11, 1                                 // 000000005618: D1FF0008 0206172B
	v_cndmask_b32_e64 v5, v8, v10, s[60:61]                    // 000000005620: D1000005 00F21508
	v_perm_b32 v49, v5, v4, s35                                // 000000005628: D1ED0031 008E0905
	buffer_store_dwordx2 v[48:49], v14, s[16:19], 0 offen      // 000000005630: E0741000 8004300E

0000000000005638 <label_0B0E>:
	s_waitcnt vmcnt(0) expcnt(0) lgkmcnt(0)                    // 000000005638: BF8C0000
	s_endpgm                                                   // 00000000563C: BF810000
